;; amdgpu-corpus repo=ROCm/rocFFT kind=compiled arch=gfx906 opt=O3
	.text
	.amdgcn_target "amdgcn-amd-amdhsa--gfx906"
	.amdhsa_code_object_version 6
	.protected	fft_rtc_fwd_len1680_factors_2_2_2_2_3_7_5_wgs_112_tpt_112_halfLds_dp_ip_CI_sbrr_dirReg ; -- Begin function fft_rtc_fwd_len1680_factors_2_2_2_2_3_7_5_wgs_112_tpt_112_halfLds_dp_ip_CI_sbrr_dirReg
	.globl	fft_rtc_fwd_len1680_factors_2_2_2_2_3_7_5_wgs_112_tpt_112_halfLds_dp_ip_CI_sbrr_dirReg
	.p2align	8
	.type	fft_rtc_fwd_len1680_factors_2_2_2_2_3_7_5_wgs_112_tpt_112_halfLds_dp_ip_CI_sbrr_dirReg,@function
fft_rtc_fwd_len1680_factors_2_2_2_2_3_7_5_wgs_112_tpt_112_halfLds_dp_ip_CI_sbrr_dirReg: ; @fft_rtc_fwd_len1680_factors_2_2_2_2_3_7_5_wgs_112_tpt_112_halfLds_dp_ip_CI_sbrr_dirReg
; %bb.0:
	s_load_dwordx2 s[14:15], s[4:5], 0x18
	s_load_dwordx4 s[8:11], s[4:5], 0x0
	s_load_dwordx2 s[12:13], s[4:5], 0x50
	v_mul_u32_u24_e32 v1, 0x24a, v0
	v_add_u32_sdwa v5, s6, v1 dst_sel:DWORD dst_unused:UNUSED_PAD src0_sel:DWORD src1_sel:WORD_1
	s_waitcnt lgkmcnt(0)
	s_load_dwordx2 s[2:3], s[14:15], 0x0
	v_cmp_lt_u64_e64 s[0:1], s[10:11], 2
	v_mov_b32_e32 v3, 0
	v_mov_b32_e32 v1, 0
	;; [unrolled: 1-line block ×3, first 2 shown]
	s_and_b64 vcc, exec, s[0:1]
	v_mov_b32_e32 v2, 0
	s_cbranch_vccnz .LBB0_8
; %bb.1:
	s_load_dwordx2 s[0:1], s[4:5], 0x10
	s_add_u32 s6, s14, 8
	s_addc_u32 s7, s15, 0
	v_mov_b32_e32 v1, 0
	v_mov_b32_e32 v2, 0
	s_waitcnt lgkmcnt(0)
	s_add_u32 s16, s0, 8
	s_addc_u32 s17, s1, 0
	s_mov_b64 s[18:19], 1
.LBB0_2:                                ; =>This Inner Loop Header: Depth=1
	s_load_dwordx2 s[20:21], s[16:17], 0x0
                                        ; implicit-def: $vgpr7_vgpr8
	s_waitcnt lgkmcnt(0)
	v_or_b32_e32 v4, s21, v6
	v_cmp_ne_u64_e32 vcc, 0, v[3:4]
	s_and_saveexec_b64 s[0:1], vcc
	s_xor_b64 s[22:23], exec, s[0:1]
	s_cbranch_execz .LBB0_4
; %bb.3:                                ;   in Loop: Header=BB0_2 Depth=1
	v_cvt_f32_u32_e32 v4, s20
	v_cvt_f32_u32_e32 v7, s21
	s_sub_u32 s0, 0, s20
	s_subb_u32 s1, 0, s21
	v_mac_f32_e32 v4, 0x4f800000, v7
	v_rcp_f32_e32 v4, v4
	v_mul_f32_e32 v4, 0x5f7ffffc, v4
	v_mul_f32_e32 v7, 0x2f800000, v4
	v_trunc_f32_e32 v7, v7
	v_mac_f32_e32 v4, 0xcf800000, v7
	v_cvt_u32_f32_e32 v7, v7
	v_cvt_u32_f32_e32 v4, v4
	v_mul_lo_u32 v8, s0, v7
	v_mul_hi_u32 v9, s0, v4
	v_mul_lo_u32 v11, s1, v4
	v_mul_lo_u32 v10, s0, v4
	v_add_u32_e32 v8, v9, v8
	v_add_u32_e32 v8, v8, v11
	v_mul_hi_u32 v9, v4, v10
	v_mul_lo_u32 v11, v4, v8
	v_mul_hi_u32 v13, v4, v8
	v_mul_hi_u32 v12, v7, v10
	v_mul_lo_u32 v10, v7, v10
	v_mul_hi_u32 v14, v7, v8
	v_add_co_u32_e32 v9, vcc, v9, v11
	v_addc_co_u32_e32 v11, vcc, 0, v13, vcc
	v_mul_lo_u32 v8, v7, v8
	v_add_co_u32_e32 v9, vcc, v9, v10
	v_addc_co_u32_e32 v9, vcc, v11, v12, vcc
	v_addc_co_u32_e32 v10, vcc, 0, v14, vcc
	v_add_co_u32_e32 v8, vcc, v9, v8
	v_addc_co_u32_e32 v9, vcc, 0, v10, vcc
	v_add_co_u32_e32 v4, vcc, v4, v8
	v_addc_co_u32_e32 v7, vcc, v7, v9, vcc
	v_mul_lo_u32 v8, s0, v7
	v_mul_hi_u32 v9, s0, v4
	v_mul_lo_u32 v10, s1, v4
	v_mul_lo_u32 v11, s0, v4
	v_add_u32_e32 v8, v9, v8
	v_add_u32_e32 v8, v8, v10
	v_mul_lo_u32 v12, v4, v8
	v_mul_hi_u32 v13, v4, v11
	v_mul_hi_u32 v14, v4, v8
	;; [unrolled: 1-line block ×3, first 2 shown]
	v_mul_lo_u32 v11, v7, v11
	v_mul_hi_u32 v9, v7, v8
	v_add_co_u32_e32 v12, vcc, v13, v12
	v_addc_co_u32_e32 v13, vcc, 0, v14, vcc
	v_mul_lo_u32 v8, v7, v8
	v_add_co_u32_e32 v11, vcc, v12, v11
	v_addc_co_u32_e32 v10, vcc, v13, v10, vcc
	v_addc_co_u32_e32 v9, vcc, 0, v9, vcc
	v_add_co_u32_e32 v8, vcc, v10, v8
	v_addc_co_u32_e32 v9, vcc, 0, v9, vcc
	v_add_co_u32_e32 v4, vcc, v4, v8
	v_addc_co_u32_e32 v9, vcc, v7, v9, vcc
	v_mad_u64_u32 v[7:8], s[0:1], v5, v9, 0
	v_mul_hi_u32 v10, v5, v4
	v_add_co_u32_e32 v11, vcc, v10, v7
	v_addc_co_u32_e32 v12, vcc, 0, v8, vcc
	v_mad_u64_u32 v[7:8], s[0:1], v6, v4, 0
	v_mad_u64_u32 v[9:10], s[0:1], v6, v9, 0
	v_add_co_u32_e32 v4, vcc, v11, v7
	v_addc_co_u32_e32 v4, vcc, v12, v8, vcc
	v_addc_co_u32_e32 v7, vcc, 0, v10, vcc
	v_add_co_u32_e32 v4, vcc, v4, v9
	v_addc_co_u32_e32 v9, vcc, 0, v7, vcc
	v_mul_lo_u32 v10, s21, v4
	v_mul_lo_u32 v11, s20, v9
	v_mad_u64_u32 v[7:8], s[0:1], s20, v4, 0
	v_add3_u32 v8, v8, v11, v10
	v_sub_u32_e32 v10, v6, v8
	v_mov_b32_e32 v11, s21
	v_sub_co_u32_e32 v7, vcc, v5, v7
	v_subb_co_u32_e64 v10, s[0:1], v10, v11, vcc
	v_subrev_co_u32_e64 v11, s[0:1], s20, v7
	v_subbrev_co_u32_e64 v10, s[0:1], 0, v10, s[0:1]
	v_cmp_le_u32_e64 s[0:1], s21, v10
	v_cndmask_b32_e64 v12, 0, -1, s[0:1]
	v_cmp_le_u32_e64 s[0:1], s20, v11
	v_cndmask_b32_e64 v11, 0, -1, s[0:1]
	v_cmp_eq_u32_e64 s[0:1], s21, v10
	v_cndmask_b32_e64 v10, v12, v11, s[0:1]
	v_add_co_u32_e64 v11, s[0:1], 2, v4
	v_addc_co_u32_e64 v12, s[0:1], 0, v9, s[0:1]
	v_add_co_u32_e64 v13, s[0:1], 1, v4
	v_addc_co_u32_e64 v14, s[0:1], 0, v9, s[0:1]
	v_subb_co_u32_e32 v8, vcc, v6, v8, vcc
	v_cmp_ne_u32_e64 s[0:1], 0, v10
	v_cmp_le_u32_e32 vcc, s21, v8
	v_cndmask_b32_e64 v10, v14, v12, s[0:1]
	v_cndmask_b32_e64 v12, 0, -1, vcc
	v_cmp_le_u32_e32 vcc, s20, v7
	v_cndmask_b32_e64 v7, 0, -1, vcc
	v_cmp_eq_u32_e32 vcc, s21, v8
	v_cndmask_b32_e32 v7, v12, v7, vcc
	v_cmp_ne_u32_e32 vcc, 0, v7
	v_cndmask_b32_e64 v7, v13, v11, s[0:1]
	v_cndmask_b32_e32 v8, v9, v10, vcc
	v_cndmask_b32_e32 v7, v4, v7, vcc
.LBB0_4:                                ;   in Loop: Header=BB0_2 Depth=1
	s_andn2_saveexec_b64 s[0:1], s[22:23]
	s_cbranch_execz .LBB0_6
; %bb.5:                                ;   in Loop: Header=BB0_2 Depth=1
	v_cvt_f32_u32_e32 v4, s20
	s_sub_i32 s22, 0, s20
	v_rcp_iflag_f32_e32 v4, v4
	v_mul_f32_e32 v4, 0x4f7ffffe, v4
	v_cvt_u32_f32_e32 v4, v4
	v_mul_lo_u32 v7, s22, v4
	v_mul_hi_u32 v7, v4, v7
	v_add_u32_e32 v4, v4, v7
	v_mul_hi_u32 v4, v5, v4
	v_mul_lo_u32 v7, v4, s20
	v_add_u32_e32 v8, 1, v4
	v_sub_u32_e32 v7, v5, v7
	v_subrev_u32_e32 v9, s20, v7
	v_cmp_le_u32_e32 vcc, s20, v7
	v_cndmask_b32_e32 v7, v7, v9, vcc
	v_cndmask_b32_e32 v4, v4, v8, vcc
	v_add_u32_e32 v8, 1, v4
	v_cmp_le_u32_e32 vcc, s20, v7
	v_cndmask_b32_e32 v7, v4, v8, vcc
	v_mov_b32_e32 v8, v3
.LBB0_6:                                ;   in Loop: Header=BB0_2 Depth=1
	s_or_b64 exec, exec, s[0:1]
	v_mul_lo_u32 v4, v8, s20
	v_mul_lo_u32 v11, v7, s21
	v_mad_u64_u32 v[9:10], s[0:1], v7, s20, 0
	s_load_dwordx2 s[0:1], s[6:7], 0x0
	s_add_u32 s18, s18, 1
	v_add3_u32 v4, v10, v11, v4
	v_sub_co_u32_e32 v5, vcc, v5, v9
	v_subb_co_u32_e32 v4, vcc, v6, v4, vcc
	s_waitcnt lgkmcnt(0)
	v_mul_lo_u32 v4, s0, v4
	v_mul_lo_u32 v6, s1, v5
	v_mad_u64_u32 v[1:2], s[0:1], s0, v5, v[1:2]
	s_addc_u32 s19, s19, 0
	s_add_u32 s6, s6, 8
	v_add3_u32 v2, v6, v2, v4
	v_mov_b32_e32 v4, s10
	v_mov_b32_e32 v5, s11
	s_addc_u32 s7, s7, 0
	v_cmp_ge_u64_e32 vcc, s[18:19], v[4:5]
	s_add_u32 s16, s16, 8
	s_addc_u32 s17, s17, 0
	s_cbranch_vccnz .LBB0_9
; %bb.7:                                ;   in Loop: Header=BB0_2 Depth=1
	v_mov_b32_e32 v5, v7
	v_mov_b32_e32 v6, v8
	s_branch .LBB0_2
.LBB0_8:
	v_mov_b32_e32 v8, v6
	v_mov_b32_e32 v7, v5
.LBB0_9:
	s_lshl_b64 s[0:1], s[10:11], 3
	s_add_u32 s0, s14, s0
	s_addc_u32 s1, s15, s1
	s_load_dwordx2 s[6:7], s[0:1], 0x0
	s_load_dwordx2 s[10:11], s[4:5], 0x20
                                        ; implicit-def: $vgpr103
                                        ; implicit-def: $vgpr105
                                        ; implicit-def: $vgpr96
                                        ; implicit-def: $vgpr97
                                        ; implicit-def: $vgpr82
                                        ; implicit-def: $vgpr83
	s_waitcnt lgkmcnt(0)
	v_mad_u64_u32 v[1:2], s[0:1], s6, v7, v[1:2]
	s_mov_b32 s0, 0x2492493
	v_mul_lo_u32 v3, s6, v8
	v_mul_lo_u32 v4, s7, v7
	v_mul_hi_u32 v5, v0, s0
	v_cmp_gt_u64_e32 vcc, s[10:11], v[7:8]
	v_cmp_le_u64_e64 s[0:1], s[10:11], v[7:8]
	v_add3_u32 v2, v4, v2, v3
	v_mul_u32_u24_e32 v3, 0x70, v5
	v_sub_u32_e32 v102, v0, v3
	s_and_saveexec_b64 s[4:5], s[0:1]
	s_xor_b64 s[0:1], exec, s[4:5]
; %bb.10:
	v_add_u32_e32 v103, 0x70, v102
	v_add_u32_e32 v105, 0xe0, v102
	;; [unrolled: 1-line block ×6, first 2 shown]
; %bb.11:
	s_or_saveexec_b64 s[4:5], s[0:1]
	v_lshlrev_b64 v[80:81], 4, v[1:2]
                                        ; implicit-def: $vgpr66_vgpr67
                                        ; implicit-def: $vgpr62_vgpr63
                                        ; implicit-def: $vgpr30_vgpr31
                                        ; implicit-def: $vgpr6_vgpr7
                                        ; implicit-def: $vgpr34_vgpr35
                                        ; implicit-def: $vgpr10_vgpr11
                                        ; implicit-def: $vgpr38_vgpr39
                                        ; implicit-def: $vgpr14_vgpr15
                                        ; implicit-def: $vgpr42_vgpr43
                                        ; implicit-def: $vgpr18_vgpr19
                                        ; implicit-def: $vgpr46_vgpr47
                                        ; implicit-def: $vgpr22_vgpr23
                                        ; implicit-def: $vgpr54_vgpr55
                                        ; implicit-def: $vgpr26_vgpr27
                                        ; implicit-def: $vgpr50_vgpr51
                                        ; implicit-def: $vgpr2_vgpr3
	s_xor_b64 exec, exec, s[4:5]
	s_cbranch_execz .LBB0_15
; %bb.12:
	v_mad_u64_u32 v[0:1], s[0:1], s2, v102, 0
	v_add_u32_e32 v5, 0x348, v102
	v_mov_b32_e32 v4, s13
	v_mad_u64_u32 v[1:2], s[0:1], s3, v102, v[1:2]
	v_mad_u64_u32 v[2:3], s[0:1], s2, v5, 0
	v_add_co_u32_e64 v56, s[0:1], s12, v80
	v_addc_co_u32_e64 v57, s[0:1], v4, v81, s[0:1]
	v_mad_u64_u32 v[3:4], s[0:1], s3, v5, v[3:4]
	v_add_u32_e32 v103, 0x70, v102
	v_mad_u64_u32 v[4:5], s[0:1], s2, v103, 0
	v_lshlrev_b64 v[0:1], 4, v[0:1]
	v_add_u32_e32 v105, 0xe0, v102
	v_add_co_u32_e64 v58, s[0:1], v56, v0
	v_addc_co_u32_e64 v59, s[0:1], v57, v1, s[0:1]
	v_lshlrev_b64 v[0:1], 4, v[2:3]
	v_mov_b32_e32 v2, v5
	v_mad_u64_u32 v[2:3], s[0:1], s3, v103, v[2:3]
	v_add_u32_e32 v3, 0x3b8, v102
	v_mad_u64_u32 v[6:7], s[0:1], s2, v3, 0
	v_add_co_u32_e64 v60, s[0:1], v56, v0
	v_mov_b32_e32 v5, v2
	v_mov_b32_e32 v2, v7
	v_addc_co_u32_e64 v61, s[0:1], v57, v1, s[0:1]
	v_mad_u64_u32 v[2:3], s[0:1], s3, v3, v[2:3]
	v_lshlrev_b64 v[0:1], 4, v[4:5]
	v_mad_u64_u32 v[3:4], s[0:1], s2, v105, 0
	v_add_co_u32_e64 v62, s[0:1], v56, v0
	v_mov_b32_e32 v7, v2
	v_mov_b32_e32 v2, v4
	v_addc_co_u32_e64 v63, s[0:1], v57, v1, s[0:1]
	v_lshlrev_b64 v[0:1], 4, v[6:7]
	v_mad_u64_u32 v[4:5], s[0:1], s3, v105, v[2:3]
	v_add_u32_e32 v7, 0x428, v102
	v_mad_u64_u32 v[5:6], s[0:1], s2, v7, 0
	v_add_co_u32_e64 v64, s[0:1], v56, v0
	v_mov_b32_e32 v2, v6
	v_addc_co_u32_e64 v65, s[0:1], v57, v1, s[0:1]
	v_lshlrev_b64 v[0:1], 4, v[3:4]
	v_mad_u64_u32 v[2:3], s[0:1], s3, v7, v[2:3]
	v_add_u32_e32 v96, 0x150, v102
	v_mad_u64_u32 v[3:4], s[0:1], s2, v96, 0
	v_add_co_u32_e64 v66, s[0:1], v56, v0
	v_mov_b32_e32 v6, v2
	v_mov_b32_e32 v2, v4
	v_addc_co_u32_e64 v67, s[0:1], v57, v1, s[0:1]
	v_lshlrev_b64 v[0:1], 4, v[5:6]
	v_mad_u64_u32 v[4:5], s[0:1], s3, v96, v[2:3]
	v_add_u32_e32 v7, 0x498, v102
	v_mad_u64_u32 v[5:6], s[0:1], s2, v7, 0
	v_add_co_u32_e64 v68, s[0:1], v56, v0
	v_mov_b32_e32 v2, v6
	v_addc_co_u32_e64 v69, s[0:1], v57, v1, s[0:1]
	v_lshlrev_b64 v[0:1], 4, v[3:4]
	v_mad_u64_u32 v[2:3], s[0:1], s3, v7, v[2:3]
	v_add_u32_e32 v97, 0x1c0, v102
	;; [unrolled: 15-line block ×4, first 2 shown]
	v_mad_u64_u32 v[3:4], s[0:1], s2, v83, 0
	v_add_co_u32_e64 v78, s[0:1], v56, v0
	v_mov_b32_e32 v6, v2
	v_mov_b32_e32 v2, v4
	v_addc_co_u32_e64 v79, s[0:1], v57, v1, s[0:1]
	v_lshlrev_b64 v[0:1], 4, v[5:6]
	v_mad_u64_u32 v[4:5], s[0:1], s3, v83, v[2:3]
	v_add_u32_e32 v7, 0x5e8, v102
	v_mad_u64_u32 v[5:6], s[0:1], s2, v7, 0
	v_add_co_u32_e64 v84, s[0:1], v56, v0
	v_mov_b32_e32 v2, v6
	v_addc_co_u32_e64 v85, s[0:1], v57, v1, s[0:1]
	v_lshlrev_b64 v[0:1], 4, v[3:4]
	v_mad_u64_u32 v[2:3], s[0:1], s3, v7, v[2:3]
	v_add_co_u32_e64 v86, s[0:1], v56, v0
	v_mov_b32_e32 v6, v2
	v_addc_co_u32_e64 v87, s[0:1], v57, v1, s[0:1]
	v_lshlrev_b64 v[0:1], 4, v[5:6]
	v_add_co_u32_e64 v88, s[0:1], v56, v0
	v_addc_co_u32_e64 v89, s[0:1], v57, v1, s[0:1]
	global_load_dwordx4 v[0:3], v[58:59], off
	global_load_dwordx4 v[48:51], v[60:61], off
	;; [unrolled: 1-line block ×14, first 2 shown]
	v_cmp_gt_u32_e64 s[0:1], 56, v102
                                        ; implicit-def: $vgpr60_vgpr61
                                        ; implicit-def: $vgpr64_vgpr65
	s_and_saveexec_b64 s[6:7], s[0:1]
	s_cbranch_execz .LBB0_14
; %bb.13:
	v_add_u32_e32 v62, 0x310, v102
	v_add_u32_e32 v64, 0x658, v102
	v_mad_u64_u32 v[58:59], s[0:1], s2, v62, 0
	v_mad_u64_u32 v[60:61], s[0:1], s2, v64, 0
	v_mad_u64_u32 v[62:63], s[0:1], s3, v62, v[59:60]
	v_mov_b32_e32 v59, v62
	v_mad_u64_u32 v[61:62], s[0:1], s3, v64, v[61:62]
	v_lshlrev_b64 v[58:59], 4, v[58:59]
	v_add_co_u32_e64 v58, s[0:1], v56, v58
	v_lshlrev_b64 v[60:61], 4, v[60:61]
	v_addc_co_u32_e64 v59, s[0:1], v57, v59, s[0:1]
	v_add_co_u32_e64 v56, s[0:1], v56, v60
	v_addc_co_u32_e64 v57, s[0:1], v57, v61, s[0:1]
	global_load_dwordx4 v[60:63], v[58:59], off
	global_load_dwordx4 v[64:67], v[56:57], off
.LBB0_14:
	s_or_b64 exec, exec, s[6:7]
.LBB0_15:
	s_or_b64 exec, exec, s[4:5]
	s_waitcnt vmcnt(12)
	v_add_f64 v[58:59], v[0:1], -v[48:49]
	s_waitcnt vmcnt(10)
	v_add_f64 v[70:71], v[24:25], -v[52:53]
	v_lshl_add_u32 v53, v102, 4, 0
	s_waitcnt vmcnt(8)
	v_add_f64 v[74:75], v[20:21], -v[44:45]
	v_lshl_add_u32 v52, v103, 4, 0
	s_waitcnt vmcnt(6)
	v_add_f64 v[78:79], v[16:17], -v[40:41]
	s_waitcnt vmcnt(4)
	v_add_f64 v[86:87], v[12:13], -v[36:37]
	;; [unrolled: 2-line block ×3, first 2 shown]
	v_fma_f64 v[56:57], v[0:1], 2.0, -v[58:59]
	v_fma_f64 v[68:69], v[24:25], 2.0, -v[70:71]
	s_waitcnt vmcnt(0)
	v_add_f64 v[94:95], v[4:5], -v[28:29]
	v_fma_f64 v[72:73], v[20:21], 2.0, -v[74:75]
	v_add_u32_e32 v104, 0x310, v102
	v_fma_f64 v[76:77], v[16:17], 2.0, -v[78:79]
	v_fma_f64 v[84:85], v[12:13], 2.0, -v[86:87]
	;; [unrolled: 1-line block ×3, first 2 shown]
	ds_write_b128 v53, v[56:59]
	ds_write_b128 v52, v[68:71]
	v_add_f64 v[58:59], v[60:61], -v[64:65]
	v_fma_f64 v[92:93], v[4:5], 2.0, -v[94:95]
	v_lshl_add_u32 v24, v105, 4, 0
	v_lshl_add_u32 v28, v96, 4, 0
	;; [unrolled: 1-line block ×5, first 2 shown]
	v_cmp_gt_u32_e64 s[0:1], 56, v102
	v_fma_f64 v[56:57], v[60:61], 2.0, -v[58:59]
	v_lshl_add_u32 v20, v104, 4, 0
	ds_write_b128 v24, v[72:75]
	ds_write_b128 v28, v[76:79]
	;; [unrolled: 1-line block ×5, first 2 shown]
	s_and_saveexec_b64 s[4:5], s[0:1]
	s_cbranch_execz .LBB0_17
; %bb.16:
	ds_write_b128 v20, v[56:59]
.LBB0_17:
	s_or_b64 exec, exec, s[4:5]
	v_lshlrev_b32_e32 v0, 3, v102
	v_lshlrev_b32_e32 v5, 3, v105
	v_sub_u32_e32 v106, v53, v0
	v_sub_u32_e32 v1, v24, v5
	s_waitcnt lgkmcnt(0)
	s_barrier
	ds_read_b64 v[8:9], v106
	ds_read_b64 v[12:13], v1
	v_add_u32_e32 v0, 0x1800, v106
	v_lshlrev_b32_e32 v4, 3, v103
	v_add_u32_e32 v1, 0x2000, v106
	v_lshlrev_b32_e32 v21, 3, v96
	v_lshlrev_b32_e32 v61, 3, v82
	;; [unrolled: 1-line block ×3, first 2 shown]
	ds_read2_b64 v[68:71], v0 offset0:72 offset1:184
	v_sub_u32_e32 v0, v52, v4
	ds_read2_b64 v[72:75], v1 offset0:40 offset1:152
	v_sub_u32_e32 v1, v28, v21
	v_lshlrev_b32_e32 v60, 3, v97
	v_add_u32_e32 v16, 0x2800, v106
	v_sub_u32_e32 v40, v32, v61
	v_sub_u32_e32 v44, v33, v85
	;; [unrolled: 1-line block ×3, first 2 shown]
	ds_read2_b64 v[76:79], v16 offset0:8 offset1:120
	ds_read_b64 v[16:17], v1
	ds_read_b64 v[36:37], v25
	;; [unrolled: 1-line block ×5, first 2 shown]
	ds_read_b64 v[0:1], v106 offset:12096
	s_and_saveexec_b64 s[4:5], s[0:1]
	s_cbranch_execz .LBB0_19
; %bb.18:
	ds_read_b64 v[56:57], v106 offset:6272
	ds_read_b64 v[58:59], v106 offset:12992
.LBB0_19:
	s_or_b64 exec, exec, s[4:5]
	v_sub_u32_e32 v84, 0, v4
	v_sub_u32_e32 v25, 0, v5
	v_add_f64 v[87:88], v[2:3], -v[50:51]
	v_add_f64 v[4:5], v[62:63], -v[66:67]
	v_add_f64 v[91:92], v[26:27], -v[54:55]
	v_add_f64 v[100:101], v[22:23], -v[46:47]
	v_add_f64 v[109:110], v[18:19], -v[42:43]
	v_add_f64 v[113:114], v[14:15], -v[38:39]
	v_add_f64 v[117:118], v[10:11], -v[34:35]
	v_add_f64 v[121:122], v[6:7], -v[30:31]
	v_sub_u32_e32 v64, 0, v60
	v_sub_u32_e32 v60, 0, v85
	v_fma_f64 v[85:86], v[2:3], 2.0, -v[87:88]
	v_fma_f64 v[2:3], v[62:63], 2.0, -v[4:5]
	;; [unrolled: 1-line block ×8, first 2 shown]
	v_sub_u32_e32 v65, 0, v21
	v_sub_u32_e32 v61, 0, v61
	s_waitcnt lgkmcnt(0)
	s_barrier
	ds_write_b128 v53, v[85:88]
	ds_write_b128 v52, v[89:92]
	;; [unrolled: 1-line block ×7, first 2 shown]
	s_and_saveexec_b64 s[4:5], s[0:1]
	s_cbranch_execz .LBB0_21
; %bb.20:
	ds_write_b128 v20, v[2:5]
.LBB0_21:
	s_or_b64 exec, exec, s[4:5]
	v_add_u32_e32 v6, 0x1800, v106
	s_waitcnt lgkmcnt(0)
	s_barrier
	ds_read2_b64 v[18:21], v6 offset0:72 offset1:184
	v_add_u32_e32 v6, 0x2000, v106
	v_add_u32_e32 v109, v24, v25
	ds_read2_b64 v[22:25], v6 offset0:40 offset1:152
	v_add_u32_e32 v110, v28, v65
	v_add_u32_e32 v6, 0x2800, v106
	ds_read_b64 v[34:35], v106
	ds_read_b64 v[38:39], v109
	v_add_u32_e32 v108, v52, v84
	v_add_u32_e32 v99, v29, v64
	ds_read2_b64 v[26:29], v6 offset0:8 offset1:120
	v_add_u32_e32 v100, v32, v61
	v_add_u32_e32 v107, v33, v60
	ds_read_b64 v[60:61], v110
	ds_read_b64 v[62:63], v99
	;; [unrolled: 1-line block ×5, first 2 shown]
	ds_read_b64 v[52:53], v106 offset:12096
	v_lshlrev_b32_e32 v101, 1, v102
	v_lshlrev_b32_e32 v111, 1, v103
	;; [unrolled: 1-line block ×7, first 2 shown]
	s_and_saveexec_b64 s[4:5], s[0:1]
	s_cbranch_execz .LBB0_23
; %bb.22:
	ds_read_b64 v[2:3], v106 offset:6272
	ds_read_b64 v[4:5], v106 offset:12992
.LBB0_23:
	s_or_b64 exec, exec, s[4:5]
	v_and_b32_e32 v94, 1, v102
	v_lshlrev_b32_e32 v6, 4, v94
	global_load_dwordx4 v[30:33], v6, s[8:9]
	s_movk_i32 s4, 0xfc
	s_movk_i32 s5, 0x1fc
	;; [unrolled: 1-line block ×4, first 2 shown]
	v_and_or_b32 v6, v101, s4, v94
	v_and_or_b32 v7, v111, s5, v94
	;; [unrolled: 1-line block ×5, first 2 shown]
	s_movk_i32 s10, 0x5fc
	v_lshl_add_u32 v95, v6, 3, 0
	v_lshl_add_u32 v118, v7, 3, 0
	;; [unrolled: 1-line block ×5, first 2 shown]
	v_and_or_b32 v14, v116, s7, v94
	v_and_or_b32 v15, v117, s10, v94
	v_lshl_add_u32 v121, v14, 3, 0
	v_lshl_add_u32 v122, v15, 3, 0
	v_lshlrev_b32_e32 v113, 1, v104
	s_waitcnt vmcnt(0) lgkmcnt(0)
	s_barrier
	v_mul_f64 v[6:7], v[18:19], v[32:33]
	v_mul_f64 v[10:11], v[20:21], v[32:33]
	;; [unrolled: 1-line block ×8, first 2 shown]
	v_fma_f64 v[6:7], v[68:69], v[30:31], -v[6:7]
	v_fma_f64 v[10:11], v[70:71], v[30:31], -v[10:11]
	;; [unrolled: 1-line block ×8, first 2 shown]
	v_add_f64 v[6:7], v[8:9], -v[6:7]
	v_add_f64 v[10:11], v[48:49], -v[10:11]
	;; [unrolled: 1-line block ×8, first 2 shown]
	v_fma_f64 v[8:9], v[8:9], 2.0, -v[6:7]
	v_fma_f64 v[82:83], v[48:49], 2.0, -v[10:11]
	;; [unrolled: 1-line block ×8, first 2 shown]
	ds_write2_b64 v95, v[8:9], v[6:7] offset1:2
	ds_write2_b64 v118, v[82:83], v[10:11] offset1:2
	;; [unrolled: 1-line block ×7, first 2 shown]
	s_and_saveexec_b64 s[4:5], s[0:1]
	s_cbranch_execz .LBB0_25
; %bb.24:
	s_movk_i32 s6, 0x6fc
	v_and_or_b32 v6, v113, s6, v94
	v_lshl_add_u32 v6, v6, 3, 0
	ds_write2_b64 v6, v[48:49], v[42:43] offset1:2
.LBB0_25:
	s_or_b64 exec, exec, s[4:5]
	v_add_u32_e32 v6, 0x1800, v106
	v_add_u32_e32 v10, 0x2000, v106
	;; [unrolled: 1-line block ×3, first 2 shown]
	s_waitcnt lgkmcnt(0)
	s_barrier
	ds_read_b64 v[50:51], v106
	ds_read2_b64 v[6:9], v6 offset0:72 offset1:184
	ds_read_b64 v[54:55], v109
	ds_read2_b64 v[10:13], v10 offset0:40 offset1:152
	ds_read2_b64 v[14:17], v14 offset0:8 offset1:120
	ds_read_b64 v[82:83], v110
	ds_read_b64 v[84:85], v99
	;; [unrolled: 1-line block ×5, first 2 shown]
	ds_read_b64 v[46:47], v106 offset:12096
	v_lshl_add_u32 v98, v102, 3, 0
	s_and_saveexec_b64 s[4:5], s[0:1]
	s_cbranch_execz .LBB0_27
; %bb.26:
	ds_read_b64 v[48:49], v98 offset:6272
	ds_read_b64 v[42:43], v106 offset:12992
.LBB0_27:
	s_or_b64 exec, exec, s[4:5]
	v_mul_f64 v[36:37], v[68:69], v[32:33]
	v_mul_f64 v[40:41], v[70:71], v[32:33]
	;; [unrolled: 1-line block ×8, first 2 shown]
	v_fma_f64 v[18:19], v[18:19], v[30:31], v[36:37]
	v_fma_f64 v[20:21], v[20:21], v[30:31], v[40:41]
	;; [unrolled: 1-line block ×8, first 2 shown]
	v_add_f64 v[18:19], v[34:35], -v[18:19]
	v_add_f64 v[20:21], v[90:91], -v[20:21]
	;; [unrolled: 1-line block ×8, first 2 shown]
	v_fma_f64 v[4:5], v[34:35], 2.0, -v[18:19]
	v_fma_f64 v[32:33], v[90:91], 2.0, -v[20:21]
	;; [unrolled: 1-line block ×8, first 2 shown]
	s_waitcnt lgkmcnt(0)
	s_barrier
	ds_write2_b64 v95, v[4:5], v[18:19] offset1:2
	ds_write2_b64 v118, v[32:33], v[20:21] offset1:2
	;; [unrolled: 1-line block ×7, first 2 shown]
	s_and_saveexec_b64 s[4:5], s[0:1]
	s_cbranch_execz .LBB0_29
; %bb.28:
	s_movk_i32 s6, 0x6fc
	v_and_or_b32 v2, v113, s6, v94
	v_lshl_add_u32 v2, v2, 3, 0
	ds_write2_b64 v2, v[0:1], v[52:53] offset1:2
.LBB0_29:
	s_or_b64 exec, exec, s[4:5]
	v_add_u32_e32 v2, 0x1800, v106
	s_waitcnt lgkmcnt(0)
	s_barrier
	ds_read_b64 v[56:57], v106
	ds_read2_b64 v[26:29], v2 offset0:72 offset1:184
	ds_read_b64 v[60:61], v109
	v_add_u32_e32 v2, 0x2000, v106
	ds_read2_b64 v[30:33], v2 offset0:40 offset1:152
	v_add_u32_e32 v2, 0x2800, v106
	ds_read2_b64 v[34:37], v2 offset0:8 offset1:120
	ds_read_b64 v[70:71], v110
	ds_read_b64 v[72:73], v99
	ds_read_b64 v[74:75], v100
	ds_read_b64 v[76:77], v107
	ds_read_b64 v[90:91], v108
	ds_read_b64 v[94:95], v106 offset:12096
	s_and_saveexec_b64 s[4:5], s[0:1]
	s_cbranch_execz .LBB0_31
; %bb.30:
	ds_read_b64 v[0:1], v98 offset:6272
	ds_read_b64 v[52:53], v106 offset:12992
.LBB0_31:
	s_or_b64 exec, exec, s[4:5]
	v_and_b32_e32 v118, 3, v102
	v_lshlrev_b32_e32 v2, 4, v118
	global_load_dwordx4 v[38:41], v2, s[8:9] offset:32
	s_movk_i32 s4, 0xf8
	s_movk_i32 s5, 0x1f8
	;; [unrolled: 1-line block ×3, first 2 shown]
	v_and_or_b32 v2, v101, s4, v118
	v_and_or_b32 v3, v111, s5, v118
	s_movk_i32 s7, 0x7f8
	s_movk_i32 s10, 0x5f8
	v_and_or_b32 v4, v112, s6, v118
	v_and_or_b32 v5, v115, s6, v118
	v_lshl_add_u32 v119, v2, 3, 0
	v_lshl_add_u32 v120, v3, 3, 0
	v_and_or_b32 v18, v116, s7, v118
	v_and_or_b32 v19, v117, s10, v118
	v_lshl_add_u32 v121, v4, 3, 0
	v_lshl_add_u32 v122, v5, 3, 0
	v_and_or_b32 v20, v114, s7, v118
	v_lshl_add_u32 v123, v18, 3, 0
	v_lshl_add_u32 v124, v19, 3, 0
	;; [unrolled: 1-line block ×3, first 2 shown]
	s_waitcnt vmcnt(0) lgkmcnt(0)
	s_barrier
	v_mul_f64 v[2:3], v[26:27], v[40:41]
	v_mul_f64 v[44:45], v[94:95], v[40:41]
	;; [unrolled: 1-line block ×8, first 2 shown]
	v_fma_f64 v[2:3], v[6:7], v[38:39], -v[2:3]
	v_fma_f64 v[44:45], v[46:47], v[38:39], -v[44:45]
	v_fma_f64 v[58:59], v[42:43], v[38:39], -v[58:59]
	v_fma_f64 v[4:5], v[8:9], v[38:39], -v[4:5]
	v_fma_f64 v[18:19], v[10:11], v[38:39], -v[18:19]
	v_fma_f64 v[20:21], v[12:13], v[38:39], -v[20:21]
	v_fma_f64 v[22:23], v[14:15], v[38:39], -v[22:23]
	v_fma_f64 v[24:25], v[16:17], v[38:39], -v[24:25]
	v_add_f64 v[2:3], v[50:51], -v[2:3]
	v_add_f64 v[62:63], v[88:89], -v[44:45]
	;; [unrolled: 1-line block ×8, first 2 shown]
	v_fma_f64 v[50:51], v[50:51], 2.0, -v[2:3]
	v_fma_f64 v[78:79], v[88:89], 2.0, -v[62:63]
	;; [unrolled: 1-line block ×8, first 2 shown]
	ds_write2_b64 v119, v[50:51], v[2:3] offset1:4
	ds_write2_b64 v120, v[58:59], v[4:5] offset1:4
	;; [unrolled: 1-line block ×7, first 2 shown]
	s_and_saveexec_b64 s[4:5], s[0:1]
	s_cbranch_execz .LBB0_33
; %bb.32:
	s_movk_i32 s6, 0x6f8
	v_and_or_b32 v2, v113, s6, v118
	v_lshl_add_u32 v2, v2, 3, 0
	ds_write2_b64 v2, v[48:49], v[44:45] offset1:4
.LBB0_33:
	s_or_b64 exec, exec, s[4:5]
	v_add_u32_e32 v2, 0x1800, v106
	v_add_u32_e32 v18, 0x2000, v106
	;; [unrolled: 1-line block ×3, first 2 shown]
	s_waitcnt lgkmcnt(0)
	s_barrier
	ds_read_b64 v[54:55], v106
	ds_read2_b64 v[2:5], v2 offset0:72 offset1:184
	ds_read_b64 v[58:59], v109
	ds_read2_b64 v[18:21], v18 offset0:40 offset1:152
	ds_read2_b64 v[22:25], v22 offset0:8 offset1:120
	ds_read_b64 v[62:63], v110
	ds_read_b64 v[64:65], v99
	;; [unrolled: 1-line block ×5, first 2 shown]
	ds_read_b64 v[50:51], v106 offset:12096
	s_and_saveexec_b64 s[4:5], s[0:1]
	s_cbranch_execz .LBB0_35
; %bb.34:
	ds_read_b64 v[48:49], v98 offset:6272
	ds_read_b64 v[44:45], v106 offset:12992
.LBB0_35:
	s_or_b64 exec, exec, s[4:5]
	v_mul_f64 v[6:7], v[6:7], v[40:41]
	v_mul_f64 v[8:9], v[8:9], v[40:41]
	;; [unrolled: 1-line block ×8, first 2 shown]
	v_fma_f64 v[6:7], v[26:27], v[38:39], v[6:7]
	v_fma_f64 v[8:9], v[28:29], v[38:39], v[8:9]
	;; [unrolled: 1-line block ×8, first 2 shown]
	v_add_f64 v[6:7], v[56:57], -v[6:7]
	v_add_f64 v[8:9], v[90:91], -v[8:9]
	;; [unrolled: 1-line block ×8, first 2 shown]
	v_fma_f64 v[28:29], v[56:57], 2.0, -v[6:7]
	v_fma_f64 v[34:35], v[90:91], 2.0, -v[8:9]
	;; [unrolled: 1-line block ×8, first 2 shown]
	s_waitcnt lgkmcnt(0)
	s_barrier
	ds_write2_b64 v119, v[28:29], v[6:7] offset1:4
	ds_write2_b64 v120, v[34:35], v[8:9] offset1:4
	;; [unrolled: 1-line block ×7, first 2 shown]
	s_and_saveexec_b64 s[4:5], s[0:1]
	s_cbranch_execz .LBB0_37
; %bb.36:
	s_movk_i32 s6, 0x6f8
	v_and_or_b32 v0, v113, s6, v118
	v_lshl_add_u32 v0, v0, 3, 0
	ds_write2_b64 v0, v[30:31], v[32:33] offset1:4
.LBB0_37:
	s_or_b64 exec, exec, s[4:5]
	v_add_u32_e32 v0, 0x1800, v106
	s_waitcnt lgkmcnt(0)
	s_barrier
	ds_read_b64 v[34:35], v106
	ds_read2_b64 v[6:9], v0 offset0:72 offset1:184
	ds_read_b64 v[36:37], v109
	v_add_u32_e32 v0, 0x2000, v106
	ds_read2_b64 v[10:13], v0 offset0:40 offset1:152
	v_add_u32_e32 v0, 0x2800, v106
	ds_read2_b64 v[14:17], v0 offset0:8 offset1:120
	ds_read_b64 v[38:39], v110
	ds_read_b64 v[40:41], v99
	;; [unrolled: 1-line block ×5, first 2 shown]
	ds_read_b64 v[56:57], v106 offset:12096
	s_and_saveexec_b64 s[4:5], s[0:1]
	s_cbranch_execz .LBB0_39
; %bb.38:
	ds_read_b64 v[30:31], v98 offset:6272
	ds_read_b64 v[32:33], v106 offset:12992
.LBB0_39:
	s_or_b64 exec, exec, s[4:5]
	v_and_b32_e32 v60, 7, v102
	v_lshlrev_b32_e32 v0, 4, v60
	global_load_dwordx4 v[26:29], v0, s[8:9] offset:96
	s_movk_i32 s4, 0xf0
	s_movk_i32 s5, 0x1f0
	v_and_or_b32 v0, v101, s4, v60
	v_and_or_b32 v1, v111, s5, v60
	v_lshl_add_u32 v61, v0, 3, 0
	v_lshl_add_u32 v70, v1, 3, 0
	s_movk_i32 s6, 0x3f0
	s_movk_i32 s7, 0x7f0
	;; [unrolled: 1-line block ×3, first 2 shown]
	v_and_or_b32 v71, v112, s6, v60
	v_and_or_b32 v72, v115, s6, v60
	;; [unrolled: 1-line block ×5, first 2 shown]
	v_lshl_add_u32 v71, v71, 3, 0
	v_lshl_add_u32 v72, v72, 3, 0
	;; [unrolled: 1-line block ×5, first 2 shown]
	s_waitcnt vmcnt(0) lgkmcnt(0)
	s_barrier
	v_mul_f64 v[0:1], v[6:7], v[28:29]
	v_mul_f64 v[76:77], v[8:9], v[28:29]
	;; [unrolled: 1-line block ×8, first 2 shown]
	v_fma_f64 v[0:1], v[2:3], v[26:27], -v[0:1]
	v_fma_f64 v[76:77], v[4:5], v[26:27], -v[76:77]
	;; [unrolled: 1-line block ×7, first 2 shown]
	v_add_f64 v[94:95], v[54:55], -v[0:1]
	v_fma_f64 v[0:1], v[44:45], v[26:27], -v[92:93]
	v_add_f64 v[76:77], v[78:79], -v[76:77]
	v_add_f64 v[82:83], v[58:59], -v[82:83]
	v_add_f64 v[84:85], v[62:63], -v[84:85]
	v_add_f64 v[86:87], v[64:65], -v[86:87]
	v_add_f64 v[88:89], v[66:67], -v[88:89]
	v_add_f64 v[90:91], v[68:69], -v[90:91]
	v_fma_f64 v[54:55], v[54:55], 2.0, -v[94:95]
	v_add_f64 v[0:1], v[48:49], -v[0:1]
	v_fma_f64 v[78:79], v[78:79], 2.0, -v[76:77]
	v_fma_f64 v[58:59], v[58:59], 2.0, -v[82:83]
	;; [unrolled: 1-line block ×6, first 2 shown]
	ds_write2_b64 v61, v[54:55], v[94:95] offset1:8
	ds_write2_b64 v70, v[78:79], v[76:77] offset1:8
	;; [unrolled: 1-line block ×7, first 2 shown]
	s_and_saveexec_b64 s[4:5], s[0:1]
	s_cbranch_execz .LBB0_41
; %bb.40:
	v_fma_f64 v[48:49], v[48:49], 2.0, -v[0:1]
	s_movk_i32 s6, 0x6f0
	v_and_or_b32 v54, v113, s6, v60
	v_lshl_add_u32 v54, v54, 3, 0
	ds_write2_b64 v54, v[48:49], v[0:1] offset1:8
.LBB0_41:
	s_or_b64 exec, exec, s[4:5]
	v_mul_f64 v[2:3], v[2:3], v[28:29]
	v_mul_f64 v[4:5], v[4:5], v[28:29]
	;; [unrolled: 1-line block ×7, first 2 shown]
	s_waitcnt lgkmcnt(0)
	v_fma_f64 v[2:3], v[6:7], v[26:27], v[2:3]
	v_fma_f64 v[4:5], v[8:9], v[26:27], v[4:5]
	;; [unrolled: 1-line block ×5, first 2 shown]
	v_mul_f64 v[16:17], v[44:45], v[28:29]
	v_fma_f64 v[10:11], v[14:15], v[26:27], v[22:23]
	v_fma_f64 v[14:15], v[56:57], v[26:27], v[48:49]
	v_add_f64 v[44:45], v[34:35], -v[2:3]
	v_add_f64 v[48:49], v[52:53], -v[4:5]
	v_add_f64 v[50:51], v[36:37], -v[6:7]
	v_add_f64 v[54:55], v[38:39], -v[8:9]
	v_add_f64 v[58:59], v[42:43], -v[12:13]
	v_fma_f64 v[2:3], v[32:33], v[26:27], v[16:17]
	v_add_f64 v[56:57], v[40:41], -v[10:11]
	v_add_f64 v[62:63], v[46:47], -v[14:15]
	v_fma_f64 v[64:65], v[34:35], 2.0, -v[44:45]
	s_barrier
	v_fma_f64 v[66:67], v[36:37], 2.0, -v[50:51]
	v_fma_f64 v[68:69], v[38:39], 2.0, -v[54:55]
	v_add_u32_e32 v36, 0x2000, v106
	v_add_u32_e32 v37, 0x1400, v106
	;; [unrolled: 1-line block ×4, first 2 shown]
	v_add_f64 v[4:5], v[30:31], -v[2:3]
	ds_read_b64 v[2:3], v106
	ds_read2_b64 v[14:17], v36 offset0:96 offset1:208
	ds_read2_b64 v[18:21], v37 offset0:32 offset1:144
	ds_read_b64 v[22:23], v109
	ds_read2_b64 v[6:9], v38 offset0:64 offset1:176
	ds_read_b64 v[24:25], v110
	;; [unrolled: 2-line block ×3, first 2 shown]
	ds_read_b64 v[26:27], v99
	ds_read_b64 v[28:29], v108
	ds_read_b64 v[32:33], v106 offset:12544
	v_fma_f64 v[52:53], v[52:53], 2.0, -v[48:49]
	v_fma_f64 v[40:41], v[40:41], 2.0, -v[56:57]
	v_fma_f64 v[42:43], v[42:43], 2.0, -v[58:59]
	v_fma_f64 v[46:47], v[46:47], 2.0, -v[62:63]
	s_waitcnt lgkmcnt(0)
	s_barrier
	ds_write2_b64 v61, v[64:65], v[44:45] offset1:8
	ds_write2_b64 v70, v[52:53], v[48:49] offset1:8
	;; [unrolled: 1-line block ×7, first 2 shown]
	s_and_saveexec_b64 s[4:5], s[0:1]
	s_cbranch_execz .LBB0_43
; %bb.42:
	v_fma_f64 v[30:31], v[30:31], 2.0, -v[4:5]
	s_movk_i32 s0, 0x6f0
	v_and_or_b32 v40, v113, s0, v60
	v_lshl_add_u32 v40, v40, 3, 0
	ds_write2_b64 v40, v[30:31], v[4:5] offset1:8
.LBB0_43:
	s_or_b64 exec, exec, s[4:5]
	v_and_b32_e32 v135, 15, v102
	v_lshlrev_b32_e32 v30, 5, v135
	s_waitcnt lgkmcnt(0)
	s_barrier
	global_load_dwordx4 v[40:43], v30, s[8:9] offset:224
	global_load_dwordx4 v[74:77], v30, s[8:9] offset:240
	v_lshrrev_b32_e32 v63, 4, v103
	v_lshrrev_b32_e32 v64, 4, v105
	v_mul_lo_u32 v63, v63, 48
	v_mul_lo_u32 v64, v64, 48
	v_lshrrev_b32_e32 v62, 4, v102
	ds_read_b64 v[50:51], v106
	ds_read2_b64 v[54:57], v36 offset0:96 offset1:208
	ds_read2_b64 v[58:61], v37 offset0:32 offset1:144
	ds_read_b64 v[48:49], v109
	ds_read2_b64 v[68:71], v38 offset0:64 offset1:176
	ds_read_b64 v[44:45], v110
	ds_read2_b64 v[36:39], v39 offset0:128 offset1:240
	ds_read_b64 v[30:31], v100
	ds_read_b64 v[46:47], v99
	ds_read_b64 v[52:53], v108
	ds_read_b64 v[78:79], v106 offset:12544
	v_lshrrev_b32_e32 v65, 4, v96
	v_mul_u32_u24_e32 v62, 48, v62
	v_mul_lo_u32 v65, v65, 48
	v_or_b32_e32 v62, v62, v135
	v_lshrrev_b32_e32 v66, 4, v97
	v_lshl_add_u32 v96, v62, 3, 0
	v_or_b32_e32 v62, v63, v135
	v_or_b32_e32 v63, v64, v135
	v_mul_lo_u32 v136, v66, 48
	v_lshl_add_u32 v99, v62, 3, 0
	v_lshl_add_u32 v97, v63, 3, 0
	v_or_b32_e32 v137, v65, v135
	s_mov_b32 s4, 0xe8584caa
	s_mov_b32 s5, 0x3febb67a
	;; [unrolled: 1-line block ×4, first 2 shown]
	s_waitcnt vmcnt(0) lgkmcnt(0)
	s_barrier
	v_cmp_gt_u32_e64 s[0:1], 16, v102
	v_mul_f64 v[62:63], v[30:31], v[42:43]
	v_mul_f64 v[66:67], v[54:55], v[76:77]
	;; [unrolled: 1-line block ×16, first 2 shown]
	v_fma_f64 v[84:85], v[34:35], v[40:41], -v[62:63]
	v_fma_f64 v[90:91], v[14:15], v[74:75], -v[66:67]
	v_mul_f64 v[119:120], v[6:7], v[76:77]
	v_mul_f64 v[123:124], v[10:11], v[42:43]
	;; [unrolled: 1-line block ×4, first 2 shown]
	v_fma_f64 v[88:89], v[30:31], v[40:41], v[64:65]
	v_fma_f64 v[62:63], v[54:55], v[74:75], v[72:73]
	v_fma_f64 v[86:87], v[18:19], v[40:41], -v[82:83]
	v_fma_f64 v[94:95], v[58:59], v[40:41], v[92:93]
	v_fma_f64 v[92:93], v[16:17], v[74:75], -v[100:101]
	;; [unrolled: 2-line block ×4, first 2 shown]
	v_fma_f64 v[56:57], v[10:11], v[40:41], -v[121:122]
	v_fma_f64 v[66:67], v[8:9], v[74:75], -v[125:126]
	v_fma_f64 v[8:9], v[70:71], v[74:75], v[127:128]
	v_fma_f64 v[60:61], v[12:13], v[40:41], -v[129:130]
	v_fma_f64 v[70:71], v[32:33], v[74:75], -v[131:132]
	v_add_f64 v[14:15], v[84:85], v[90:91]
	v_fma_f64 v[6:7], v[68:69], v[74:75], v[119:120]
	v_fma_f64 v[68:69], v[36:37], v[40:41], v[123:124]
	;; [unrolled: 1-line block ×4, first 2 shown]
	v_add_f64 v[18:19], v[28:29], v[86:87]
	v_add_f64 v[20:21], v[86:87], v[92:93]
	;; [unrolled: 1-line block ×6, first 2 shown]
	v_add_f64 v[16:17], v[88:89], -v[62:63]
	v_fma_f64 v[2:3], v[14:15], -0.5, v[2:3]
	v_add_f64 v[30:31], v[94:95], -v[76:77]
	v_add_f64 v[32:33], v[22:23], v[54:55]
	v_add_f64 v[36:37], v[64:65], -v[6:7]
	v_add_f64 v[38:39], v[24:25], v[56:57]
	;; [unrolled: 2-line block ×4, first 2 shown]
	v_fma_f64 v[18:19], v[20:21], -0.5, v[28:29]
	v_fma_f64 v[22:23], v[34:35], -0.5, v[22:23]
	v_fma_f64 v[24:25], v[40:41], -0.5, v[24:25]
	v_fma_f64 v[26:27], v[78:79], -0.5, v[26:27]
	v_add_f64 v[12:13], v[12:13], v[90:91]
	v_fma_f64 v[34:35], v[16:17], s[4:5], v[2:3]
	v_fma_f64 v[2:3], v[16:17], s[6:7], v[2:3]
	v_add_f64 v[20:21], v[32:33], v[58:59]
	v_add_f64 v[28:29], v[38:39], v[66:67]
	;; [unrolled: 1-line block ×3, first 2 shown]
	v_fma_f64 v[16:17], v[30:31], s[4:5], v[18:19]
	v_fma_f64 v[18:19], v[30:31], s[6:7], v[18:19]
	;; [unrolled: 1-line block ×8, first 2 shown]
	ds_write2_b64 v96, v[12:13], v[34:35] offset1:16
	ds_write_b64 v96, v[2:3] offset:256
	ds_write2_b64 v99, v[14:15], v[16:17] offset1:16
	ds_write_b64 v99, v[18:19] offset:256
	;; [unrolled: 2-line block ×3, first 2 shown]
	v_or_b32_e32 v2, v136, v135
	v_lshl_add_u32 v100, v137, 3, 0
	v_lshl_add_u32 v111, v2, 3, 0
	v_add_u32_e32 v101, 0x100, v106
	v_add_u32_e32 v112, 0x80, v106
	;; [unrolled: 1-line block ×3, first 2 shown]
	ds_write2_b64 v100, v[28:29], v[36:37] offset1:16
	ds_write_b64 v100, v[24:25] offset:256
	ds_write2_b64 v111, v[32:33], v[38:39] offset1:16
	ds_write_b64 v111, v[74:75] offset:256
	s_waitcnt lgkmcnt(0)
	s_barrier
	ds_read2_b64 v[12:15], v106 offset1:240
	ds_read2st64_b64 v[40:43], v101 offset0:5 offset1:7
	ds_read2st64_b64 v[36:39], v112 offset0:9 offset1:11
	;; [unrolled: 1-line block ×5, first 2 shown]
	ds_read_b64 v[78:79], v108
	ds_read_b64 v[82:83], v106 offset:12416
                                        ; implicit-def: $vgpr18_vgpr19
                                        ; implicit-def: $vgpr26_vgpr27
	s_and_saveexec_b64 s[10:11], s[0:1]
	s_cbranch_execz .LBB0_45
; %bb.44:
	v_add_u32_e32 v16, 0x1d80, v98
	v_add_u32_e32 v0, 0xe80, v98
	ds_read2_b64 v[24:27], v16 offset1:240
	v_add_u32_e32 v16, 0x2c80, v98
	ds_read_b64 v[74:75], v109
	ds_read2_b64 v[0:3], v0 offset1:240
	ds_read2_b64 v[16:19], v16 offset1:240
.LBB0_45:
	s_or_b64 exec, exec, s[10:11]
	v_add_f64 v[114:115], v[88:89], v[62:63]
	v_add_f64 v[116:117], v[94:95], v[76:77]
	v_add_f64 v[86:87], v[86:87], -v[92:93]
	v_add_f64 v[92:93], v[64:65], v[6:7]
	v_add_f64 v[84:85], v[84:85], -v[90:91]
	v_add_f64 v[90:91], v[52:53], v[94:95]
	v_add_f64 v[94:95], v[68:69], v[8:9]
	;; [unrolled: 1-line block ×3, first 2 shown]
	v_fma_f64 v[50:51], v[114:115], -0.5, v[50:51]
	v_add_f64 v[114:115], v[72:73], v[10:11]
	v_fma_f64 v[52:53], v[116:117], -0.5, v[52:53]
	v_add_f64 v[64:65], v[48:49], v[64:65]
	v_fma_f64 v[48:49], v[92:93], -0.5, v[48:49]
	v_add_f64 v[54:55], v[54:55], -v[58:59]
	v_add_f64 v[58:59], v[44:45], v[68:69]
	v_fma_f64 v[44:45], v[94:95], -0.5, v[44:45]
	v_add_f64 v[56:57], v[56:57], -v[66:67]
	;; [unrolled: 3-line block ×3, first 2 shown]
	v_add_f64 v[62:63], v[88:89], v[62:63]
	v_fma_f64 v[88:89], v[84:85], s[6:7], v[50:51]
	v_fma_f64 v[50:51], v[84:85], s[4:5], v[50:51]
	v_add_f64 v[76:77], v[90:91], v[76:77]
	v_fma_f64 v[84:85], v[86:87], s[6:7], v[52:53]
	v_fma_f64 v[52:53], v[86:87], s[4:5], v[52:53]
	v_add_f64 v[6:7], v[64:65], v[6:7]
	v_fma_f64 v[64:65], v[54:55], s[6:7], v[48:49]
	v_fma_f64 v[48:49], v[54:55], s[4:5], v[48:49]
	v_add_f64 v[8:9], v[58:59], v[8:9]
	v_fma_f64 v[54:55], v[56:57], s[6:7], v[44:45]
	v_fma_f64 v[44:45], v[56:57], s[4:5], v[44:45]
	v_add_f64 v[10:11], v[66:67], v[10:11]
	v_fma_f64 v[56:57], v[60:61], s[6:7], v[46:47]
	v_fma_f64 v[72:73], v[60:61], s[4:5], v[46:47]
	s_waitcnt lgkmcnt(0)
	s_barrier
	ds_write2_b64 v96, v[62:63], v[88:89] offset1:16
	ds_write_b64 v96, v[50:51] offset:256
	ds_write2_b64 v99, v[76:77], v[84:85] offset1:16
	ds_write_b64 v99, v[52:53] offset:256
	;; [unrolled: 2-line block ×5, first 2 shown]
	s_waitcnt lgkmcnt(0)
	s_barrier
	ds_read2_b64 v[8:11], v106 offset1:240
	ds_read2st64_b64 v[68:71], v101 offset0:5 offset1:7
	ds_read2st64_b64 v[64:67], v112 offset0:9 offset1:11
	;; [unrolled: 1-line block ×5, first 2 shown]
	ds_read_b64 v[76:77], v108
	ds_read_b64 v[84:85], v106 offset:12416
                                        ; implicit-def: $vgpr46_vgpr47
                                        ; implicit-def: $vgpr54_vgpr55
	s_and_saveexec_b64 s[4:5], s[0:1]
	s_cbranch_execz .LBB0_47
; %bb.46:
	v_add_u32_e32 v44, 0x1d80, v98
	v_add_u32_e32 v4, 0xe80, v98
	ds_read2_b64 v[52:55], v44 offset1:240
	v_add_u32_e32 v44, 0x2c80, v98
	ds_read_b64 v[72:73], v109
	ds_read2_b64 v[4:7], v4 offset1:240
	ds_read2_b64 v[44:47], v44 offset1:240
.LBB0_47:
	s_or_b64 exec, exec, s[4:5]
	s_movk_i32 s4, 0xab
	v_mul_lo_u16_sdwa v86, v102, s4 dst_sel:DWORD dst_unused:UNUSED_PAD src0_sel:BYTE_0 src1_sel:DWORD
	v_mul_lo_u16_sdwa v92, v103, s4 dst_sel:DWORD dst_unused:UNUSED_PAD src0_sel:BYTE_0 src1_sel:DWORD
	v_lshrrev_b16_e32 v111, 13, v86
	v_lshrrev_b16_e32 v113, 13, v92
	v_mul_lo_u16_e32 v86, 48, v111
	v_mul_lo_u16_e32 v92, 48, v113
	s_mov_b32 s4, 0xaaab
	v_sub_u16_e32 v112, v102, v86
	v_mov_b32_e32 v86, 6
	v_sub_u16_e32 v114, v103, v92
	v_mul_u32_u24_sdwa v100, v105, s4 dst_sel:DWORD dst_unused:UNUSED_PAD src0_sel:WORD_0 src1_sel:DWORD
	v_mul_u32_u24_sdwa v87, v112, v86 dst_sel:DWORD dst_unused:UNUSED_PAD src0_sel:BYTE_0 src1_sel:DWORD
	v_mul_u32_u24_sdwa v86, v114, v86 dst_sel:DWORD dst_unused:UNUSED_PAD src0_sel:BYTE_0 src1_sel:DWORD
	v_lshrrev_b32_e32 v100, 21, v100
	v_lshlrev_b32_e32 v87, 4, v87
	v_lshlrev_b32_e32 v86, 4, v86
	v_mul_lo_u16_e32 v100, 48, v100
	global_load_dwordx4 v[88:91], v87, s[8:9] offset:752
	global_load_dwordx4 v[92:95], v86, s[8:9] offset:736
	;; [unrolled: 1-line block ×9, first 2 shown]
	v_sub_u16_e32 v207, v105, v100
	v_mul_u32_u24_e32 v100, 6, v207
	v_lshlrev_b32_e32 v100, 4, v100
	global_load_dwordx4 v[139:142], v86, s[8:9] offset:800
	global_load_dwordx4 v[143:146], v100, s[8:9] offset:736
	;; [unrolled: 1-line block ×9, first 2 shown]
	s_mov_b32 s6, 0x37e14327
	s_mov_b32 s4, 0x36b3c0b5
	;; [unrolled: 1-line block ×20, first 2 shown]
	s_waitcnt vmcnt(0) lgkmcnt(0)
	s_barrier
	v_mul_f64 v[100:101], v[68:69], v[94:95]
	v_mul_f64 v[94:95], v[40:41], v[94:95]
	;; [unrolled: 1-line block ×22, first 2 shown]
	v_fma_f64 v[86:87], v[42:43], v[88:89], -v[86:87]
	v_fma_f64 v[90:91], v[70:71], v[88:89], v[90:91]
	v_fma_f64 v[70:71], v[40:41], v[92:93], -v[100:101]
	v_fma_f64 v[68:69], v[68:69], v[92:93], v[94:95]
	;; [unrolled: 2-line block ×4, first 2 shown]
	v_fma_f64 v[56:57], v[22:23], v[135:136], -v[187:188]
	v_fma_f64 v[98:99], v[14:15], v[159:160], -v[199:200]
	v_mul_f64 v[189:190], v[48:49], v[141:142]
	v_mul_f64 v[141:142], v[20:21], v[141:142]
	;; [unrolled: 1-line block ×6, first 2 shown]
	v_fma_f64 v[66:67], v[36:37], v[115:116], -v[177:178]
	v_fma_f64 v[64:65], v[64:65], v[115:116], v[117:118]
	v_fma_f64 v[94:95], v[34:35], v[119:120], -v[179:180]
	v_fma_f64 v[62:63], v[62:63], v[119:120], v[121:122]
	v_fma_f64 v[58:59], v[58:59], v[131:132], v[133:134]
	v_fma_f64 v[100:101], v[50:51], v[135:136], v[137:138]
	v_fma_f64 v[38:39], v[4:5], v[143:144], v[145:146]
	v_fma_f64 v[40:41], v[6:7], v[147:148], v[149:150]
	v_add_f64 v[6:7], v[98:99], v[56:57]
	v_add_f64 v[115:116], v[86:87], v[96:97]
	v_fma_f64 v[4:5], v[10:11], v[159:160], v[161:162]
	v_mul_f64 v[195:196], v[52:53], v[153:154]
	v_mul_f64 v[153:154], v[24:25], v[153:154]
	;; [unrolled: 1-line block ×5, first 2 shown]
	v_fma_f64 v[14:15], v[48:49], v[139:140], v[141:142]
	v_fma_f64 v[22:23], v[0:1], v[143:144], -v[191:192]
	v_fma_f64 v[42:43], v[26:27], v[155:156], -v[197:198]
	v_fma_f64 v[48:49], v[54:55], v[155:156], v[157:158]
	v_fma_f64 v[0:1], v[82:83], v[163:164], -v[201:202]
	v_add_f64 v[10:11], v[90:91], -v[58:59]
	v_add_f64 v[26:27], v[88:89], v[94:95]
	v_add_f64 v[54:55], v[62:63], -v[92:93]
	v_add_f64 v[82:83], v[115:116], v[6:7]
	v_fma_f64 v[50:51], v[16:17], v[167:168], -v[203:204]
	v_add_f64 v[16:17], v[4:5], -v[100:101]
	v_mul_f64 v[181:182], v[60:61], v[125:126]
	v_mul_f64 v[125:126], v[32:33], v[125:126]
	;; [unrolled: 1-line block ×3, first 2 shown]
	v_fma_f64 v[20:21], v[20:21], v[139:140], -v[189:190]
	v_fma_f64 v[34:35], v[2:3], v[147:148], -v[193:194]
	v_fma_f64 v[36:37], v[52:53], v[151:152], v[153:154]
	v_fma_f64 v[2:3], v[84:85], v[163:164], v[165:166]
	v_fma_f64 v[52:53], v[18:19], v[171:172], -v[205:206]
	v_add_f64 v[18:19], v[54:55], v[10:11]
	v_add_f64 v[82:83], v[26:27], v[82:83]
	v_add_f64 v[84:85], v[115:116], -v[6:7]
	v_add_f64 v[6:7], v[6:7], -v[26:27]
	;; [unrolled: 1-line block ×5, first 2 shown]
	v_fma_f64 v[32:33], v[32:33], v[123:124], -v[181:182]
	v_fma_f64 v[60:61], v[60:61], v[123:124], v[125:126]
	v_fma_f64 v[28:29], v[28:29], v[127:128], -v[185:186]
	v_add_f64 v[54:55], v[16:17], -v[54:55]
	v_add_f64 v[16:17], v[18:19], v[16:17]
	v_mul_f64 v[6:7], v[6:7], s[6:7]
	v_mul_f64 v[18:19], v[26:27], s[4:5]
	v_mul_f64 v[115:116], v[115:116], s[14:15]
	v_mul_f64 v[117:118], v[10:11], s[10:11]
	v_add_f64 v[119:120], v[70:71], v[0:1]
	v_add_f64 v[121:122], v[66:67], v[20:21]
	v_add_f64 v[125:126], v[64:65], -v[14:15]
	v_add_f64 v[127:128], v[68:69], -v[2:3]
	v_fma_f64 v[26:27], v[26:27], s[4:5], v[6:7]
	v_fma_f64 v[18:19], v[84:85], s[18:19], -v[18:19]
	v_fma_f64 v[6:7], v[84:85], s[20:21], -v[6:7]
	v_fma_f64 v[84:85], v[54:55], s[22:23], v[115:116]
	v_fma_f64 v[10:11], v[10:11], s[10:11], -v[115:116]
	v_add_f64 v[115:116], v[32:33], v[28:29]
	v_add_f64 v[123:124], v[121:122], v[119:120]
	v_fma_f64 v[54:55], v[54:55], s[24:25], -v[117:118]
	v_add_f64 v[117:118], v[30:31], -v[60:61]
	v_add_f64 v[12:13], v[12:13], v[82:83]
	v_add_f64 v[133:134], v[125:126], -v[127:128]
	v_fma_f64 v[84:85], v[16:17], s[26:27], v[84:85]
	v_fma_f64 v[10:11], v[16:17], s[26:27], v[10:11]
	v_add_f64 v[129:130], v[119:120], -v[115:116]
	v_add_f64 v[131:132], v[115:116], -v[121:122]
	v_add_f64 v[115:116], v[115:116], v[123:124]
	v_add_f64 v[119:120], v[121:122], -v[119:120]
	v_add_f64 v[121:122], v[117:118], v[125:126]
	v_add_f64 v[125:126], v[117:118], -v[125:126]
	v_fma_f64 v[82:83], v[82:83], s[16:17], v[12:13]
	v_add_f64 v[117:118], v[127:128], -v[117:118]
	v_mul_f64 v[123:124], v[129:130], s[6:7]
	v_mul_f64 v[129:130], v[131:132], s[4:5]
	;; [unrolled: 1-line block ×3, first 2 shown]
	v_add_f64 v[137:138], v[78:79], v[115:116]
	v_add_f64 v[78:79], v[121:122], v[127:128]
	v_mul_f64 v[121:122], v[125:126], s[14:15]
	v_add_f64 v[26:27], v[26:27], v[82:83]
	v_add_f64 v[18:19], v[18:19], v[82:83]
	;; [unrolled: 1-line block ×3, first 2 shown]
	v_fma_f64 v[82:83], v[131:132], s[4:5], v[123:124]
	v_fma_f64 v[125:126], v[119:120], s[18:19], -v[129:130]
	v_fma_f64 v[119:120], v[119:120], s[20:21], -v[123:124]
	;; [unrolled: 1-line block ×3, first 2 shown]
	v_fma_f64 v[115:116], v[115:116], s[16:17], v[137:138]
	v_fma_f64 v[117:118], v[117:118], s[22:23], v[121:122]
	v_fma_f64 v[121:122], v[133:134], s[10:11], -v[121:122]
	v_fma_f64 v[16:17], v[16:17], s[26:27], v[54:55]
	v_fma_f64 v[24:25], v[24:25], v[151:152], -v[195:196]
	v_fma_f64 v[44:45], v[44:45], v[167:168], v[169:170]
	v_fma_f64 v[46:47], v[46:47], v[171:172], v[173:174]
	v_add_f64 v[54:55], v[82:83], v[115:116]
	v_fma_f64 v[117:118], v[78:79], s[26:27], v[117:118]
	v_add_f64 v[82:83], v[125:126], v[115:116]
	v_add_f64 v[115:116], v[119:120], v[115:116]
	v_fma_f64 v[121:122], v[78:79], s[26:27], v[121:122]
	v_fma_f64 v[78:79], v[78:79], s[26:27], v[123:124]
	v_add_f64 v[119:120], v[84:85], v[26:27]
	v_add_f64 v[123:124], v[18:19], -v[10:11]
	v_add_f64 v[10:11], v[10:11], v[18:19]
	v_add_f64 v[18:19], v[16:17], v[6:7]
	v_add_f64 v[6:7], v[6:7], -v[16:17]
	v_add_f64 v[16:17], v[26:27], -v[84:85]
	v_add_f64 v[26:27], v[117:118], v[54:55]
	v_add_f64 v[84:85], v[82:83], -v[121:122]
	v_add_f64 v[82:83], v[121:122], v[82:83]
	v_add_f64 v[121:122], v[78:79], v[115:116]
	v_add_f64 v[115:116], v[115:116], -v[78:79]
	v_add_f64 v[117:118], v[54:55], -v[117:118]
	v_mov_b32_e32 v78, 3
	v_mul_u32_u24_e32 v54, 0xa80, v111
	v_lshlrev_b32_sdwa v55, v78, v112 dst_sel:DWORD dst_unused:UNUSED_PAD src0_sel:DWORD src1_sel:BYTE_0
	v_add3_u32 v55, 0, v54, v55
	ds_write2_b64 v55, v[12:13], v[119:120] offset1:48
	ds_write2_b64 v55, v[18:19], v[123:124] offset0:96 offset1:144
	ds_write2_b64 v55, v[10:11], v[6:7] offset0:192 offset1:240
	ds_write_b64 v55, v[16:17] offset:2304
	v_mul_u32_u24_e32 v6, 0xa80, v113
	v_lshlrev_b32_sdwa v7, v78, v114 dst_sel:DWORD dst_unused:UNUSED_PAD src0_sel:DWORD src1_sel:BYTE_0
	v_add3_u32 v78, 0, v6, v7
	v_lshl_add_u32 v54, v207, 3, 0
	ds_write2_b64 v78, v[137:138], v[26:27] offset1:48
	ds_write2_b64 v78, v[121:122], v[84:85] offset0:96 offset1:144
	ds_write2_b64 v78, v[82:83], v[115:116] offset0:192 offset1:240
	ds_write_b64 v78, v[117:118] offset:2304
	s_and_saveexec_b64 s[28:29], s[0:1]
	s_cbranch_execz .LBB0_49
; %bb.48:
	v_add_f64 v[6:7], v[22:23], v[52:53]
	v_add_f64 v[10:11], v[34:35], v[50:51]
	v_add_f64 v[12:13], v[48:49], -v[36:37]
	v_add_f64 v[16:17], v[40:41], -v[44:45]
	v_add_f64 v[18:19], v[24:25], v[42:43]
	v_add_f64 v[26:27], v[38:39], -v[46:47]
	v_add_f64 v[82:83], v[10:11], v[6:7]
	v_add_f64 v[84:85], v[12:13], -v[16:17]
	v_add_f64 v[111:112], v[6:7], -v[18:19]
	;; [unrolled: 1-line block ×5, first 2 shown]
	v_add_f64 v[18:19], v[18:19], v[82:83]
	v_add_f64 v[82:83], v[26:27], -v[12:13]
	v_add_f64 v[12:13], v[12:13], v[16:17]
	v_mul_f64 v[10:11], v[84:85], s[14:15]
	v_mul_f64 v[16:17], v[111:112], s[6:7]
	;; [unrolled: 1-line block ×4, first 2 shown]
	v_add_f64 v[74:75], v[74:75], v[18:19]
	v_add_f64 v[12:13], v[12:13], v[26:27]
	v_fma_f64 v[26:27], v[82:83], s[22:23], v[10:11]
	v_fma_f64 v[117:118], v[6:7], s[20:21], -v[16:17]
	v_fma_f64 v[16:17], v[115:116], s[4:5], v[16:17]
	v_fma_f64 v[82:83], v[82:83], s[24:25], -v[84:85]
	v_fma_f64 v[10:11], v[113:114], s[10:11], -v[10:11]
	v_fma_f64 v[18:19], v[18:19], s[16:17], v[74:75]
	v_fma_f64 v[6:7], v[6:7], s[18:19], -v[111:112]
	v_fma_f64 v[26:27], v[12:13], s[26:27], v[26:27]
	v_fma_f64 v[82:83], v[12:13], s[26:27], v[82:83]
	;; [unrolled: 1-line block ×3, first 2 shown]
	v_add_f64 v[16:17], v[16:17], v[18:19]
	v_add_f64 v[12:13], v[117:118], v[18:19]
	;; [unrolled: 1-line block ×4, first 2 shown]
	v_add_f64 v[18:19], v[12:13], -v[82:83]
	v_add_f64 v[84:85], v[6:7], -v[10:11]
	v_add_f64 v[12:13], v[82:83], v[12:13]
	v_add_f64 v[6:7], v[10:11], v[6:7]
	v_add_f64 v[10:11], v[16:17], -v[26:27]
	v_add_u32_e32 v16, 0x2800, v54
	v_add_u32_e32 v17, 0x3000, v54
	ds_write2_b64 v16, v[74:75], v[111:112] offset0:64 offset1:112
	ds_write2_b64 v16, v[12:13], v[84:85] offset0:160 offset1:208
	ds_write2_b64 v17, v[6:7], v[18:19] offset1:48
	ds_write_b64 v54, v[10:11] offset:13056
.LBB0_49:
	s_or_b64 exec, exec, s[28:29]
	v_add_f64 v[4:5], v[4:5], v[100:101]
	v_add_f64 v[6:7], v[90:91], v[58:59]
	v_add_f64 v[12:13], v[86:87], -v[96:97]
	v_add_f64 v[16:17], v[92:93], v[62:63]
	v_add_f64 v[18:19], v[94:95], -v[88:89]
	v_add_f64 v[10:11], v[98:99], -v[56:57]
	;; [unrolled: 1-line block ×3, first 2 shown]
	v_add_f64 v[2:3], v[68:69], v[2:3]
	v_add_f64 v[14:15], v[64:65], v[14:15]
	;; [unrolled: 1-line block ×3, first 2 shown]
	v_add_f64 v[0:1], v[70:71], -v[0:1]
	v_add_f64 v[32:33], v[4:5], -v[16:17]
	;; [unrolled: 1-line block ×3, first 2 shown]
	v_add_f64 v[56:57], v[18:19], v[12:13]
	v_add_f64 v[20:21], v[66:67], -v[20:21]
	v_add_f64 v[30:31], v[60:61], v[30:31]
	v_add_f64 v[60:61], v[14:15], v[2:3]
	;; [unrolled: 1-line block ×3, first 2 shown]
	v_add_f64 v[16:17], v[16:17], -v[6:7]
	v_add_f64 v[6:7], v[18:19], -v[12:13]
	;; [unrolled: 1-line block ×4, first 2 shown]
	v_mul_f64 v[32:33], v[32:33], s[6:7]
	v_add_f64 v[10:11], v[56:57], v[10:11]
	v_add_f64 v[62:63], v[2:3], -v[30:31]
	v_add_f64 v[58:59], v[8:9], v[26:27]
	v_mul_f64 v[8:9], v[16:17], s[4:5]
	v_mul_f64 v[6:7], v[6:7], s[14:15]
	v_add_f64 v[64:65], v[30:31], -v[14:15]
	v_mul_f64 v[56:57], v[12:13], s[10:11]
	v_fma_f64 v[16:17], v[16:17], s[4:5], v[32:33]
	v_add_f64 v[30:31], v[30:31], v[60:61]
	v_add_f64 v[2:3], v[14:15], -v[2:3]
	v_fma_f64 v[26:27], v[26:27], s[16:17], v[58:59]
	v_fma_f64 v[8:9], v[4:5], s[18:19], -v[8:9]
	v_fma_f64 v[4:5], v[4:5], s[20:21], -v[32:33]
	v_fma_f64 v[32:33], v[18:19], s[22:23], v[6:7]
	v_fma_f64 v[6:7], v[12:13], s[10:11], -v[6:7]
	v_fma_f64 v[12:13], v[18:19], s[24:25], -v[56:57]
	v_add_f64 v[14:15], v[28:29], v[20:21]
	v_add_f64 v[56:57], v[76:77], v[30:31]
	;; [unrolled: 1-line block ×5, first 2 shown]
	v_fma_f64 v[18:19], v[10:11], s[26:27], v[32:33]
	v_add_f64 v[26:27], v[28:29], -v[20:21]
	v_add_f64 v[32:33], v[20:21], -v[0:1]
	v_mul_f64 v[20:21], v[62:63], s[6:7]
	v_mul_f64 v[60:61], v[64:65], s[4:5]
	v_add_f64 v[28:29], v[0:1], -v[28:29]
	v_add_f64 v[0:1], v[14:15], v[0:1]
	v_fma_f64 v[14:15], v[30:31], s[16:17], v[56:57]
	v_fma_f64 v[6:7], v[10:11], s[26:27], v[6:7]
	v_mul_f64 v[26:27], v[26:27], s[14:15]
	v_mul_f64 v[62:63], v[32:33], s[10:11]
	v_fma_f64 v[30:31], v[64:65], s[4:5], v[20:21]
	v_fma_f64 v[60:61], v[2:3], s[18:19], -v[60:61]
	v_fma_f64 v[2:3], v[2:3], s[20:21], -v[20:21]
	v_fma_f64 v[10:11], v[10:11], s[26:27], v[12:13]
	v_add_f64 v[70:71], v[18:19], v[16:17]
	v_add_f64 v[64:65], v[6:7], v[8:9]
	v_fma_f64 v[20:21], v[28:29], s[22:23], v[26:27]
	v_fma_f64 v[28:29], v[28:29], s[24:25], -v[62:63]
	v_fma_f64 v[26:27], v[32:33], s[10:11], -v[26:27]
	v_add_f64 v[12:13], v[30:31], v[14:15]
	v_add_f64 v[30:31], v[60:61], v[14:15]
	;; [unrolled: 1-line block ×3, first 2 shown]
	v_add_f64 v[60:61], v[4:5], -v[10:11]
	v_add_f64 v[68:69], v[10:11], v[4:5]
	v_fma_f64 v[14:15], v[0:1], s[26:27], v[20:21]
	v_fma_f64 v[20:21], v[0:1], s[26:27], v[28:29]
	;; [unrolled: 1-line block ×3, first 2 shown]
	v_add_u32_e32 v4, 0x1800, v106
	v_add_f64 v[62:63], v[16:17], -v[18:19]
	v_add_f64 v[66:67], v[8:9], -v[6:7]
	s_waitcnt lgkmcnt(0)
	s_barrier
	v_add_f64 v[74:75], v[12:13], -v[14:15]
	v_add_f64 v[76:77], v[2:3], -v[20:21]
	v_add_f64 v[82:83], v[0:1], v[30:31]
	v_add_f64 v[84:85], v[30:31], -v[0:1]
	v_add_f64 v[86:87], v[20:21], v[2:3]
	v_add_f64 v[88:89], v[14:15], v[12:13]
	ds_read2st64_b64 v[0:3], v106 offset1:7
	ds_read_b64 v[26:27], v107
	ds_read2_b64 v[8:11], v4 offset0:128 offset1:240
	v_add_u32_e32 v4, 0x2800, v106
	v_add_u32_e32 v12, 0x1100, v106
	;; [unrolled: 1-line block ×3, first 2 shown]
	ds_read2_b64 v[4:7], v4 offset0:64 offset1:176
	ds_read2_b64 v[12:15], v12 offset0:16 offset1:240
	;; [unrolled: 1-line block ×3, first 2 shown]
	ds_read_b64 v[28:29], v110
	ds_read_b64 v[32:33], v109
	ds_read_b64 v[30:31], v108
	ds_read_b64 v[20:21], v106 offset:12544
	s_waitcnt lgkmcnt(0)
	s_barrier
	ds_write2_b64 v55, v[58:59], v[62:63] offset1:48
	ds_write2_b64 v55, v[60:61], v[64:65] offset0:96 offset1:144
	ds_write2_b64 v55, v[66:67], v[68:69] offset0:192 offset1:240
	ds_write_b64 v55, v[70:71] offset:2304
	ds_write2_b64 v78, v[56:57], v[74:75] offset1:48
	ds_write2_b64 v78, v[76:77], v[82:83] offset0:96 offset1:144
	ds_write2_b64 v78, v[84:85], v[86:87] offset0:192 offset1:240
	ds_write_b64 v78, v[88:89] offset:2304
	s_and_saveexec_b64 s[4:5], s[0:1]
	s_cbranch_execz .LBB0_51
; %bb.50:
	v_add_f64 v[38:39], v[38:39], v[46:47]
	v_add_f64 v[40:41], v[40:41], v[44:45]
	;; [unrolled: 1-line block ×3, first 2 shown]
	v_add_f64 v[24:25], v[42:43], -v[24:25]
	v_add_f64 v[34:35], v[34:35], -v[50:51]
	v_add_f64 v[22:23], v[22:23], -v[52:53]
	s_mov_b32 s6, 0x36b3c0b5
	s_mov_b32 s0, 0x37e14327
	s_mov_b32 s7, 0x3fac98ee
	v_add_f64 v[42:43], v[40:41], v[38:39]
	v_add_f64 v[44:45], v[38:39], -v[36:37]
	s_mov_b32 s1, 0x3fe948f6
	v_add_f64 v[46:47], v[24:25], v[34:35]
	v_add_f64 v[48:49], v[24:25], -v[34:35]
	v_add_f64 v[34:35], v[34:35], -v[22:23]
	s_mov_b32 s10, 0xe976ee23
	v_add_f64 v[38:39], v[40:41], -v[38:39]
	v_add_f64 v[42:43], v[36:37], v[42:43]
	v_add_f64 v[36:37], v[36:37], -v[40:41]
	s_mov_b32 s11, 0xbfe11646
	s_mov_b32 s14, 0x429ad128
	v_mul_f64 v[44:45], v[44:45], s[0:1]
	s_mov_b32 s15, 0x3febfeb5
	v_add_f64 v[24:25], v[22:23], -v[24:25]
	v_add_f64 v[22:23], v[46:47], v[22:23]
	v_add_f64 v[50:51], v[72:73], v[42:43]
	v_mul_f64 v[40:41], v[36:37], s[6:7]
	v_mul_f64 v[46:47], v[48:49], s[10:11]
	v_mul_f64 v[48:49], v[34:35], s[14:15]
	s_mov_b32 s1, 0x3fe77f67
	s_mov_b32 s0, 0x5476071b
	v_fma_f64 v[36:37], v[36:37], s[6:7], v[44:45]
	v_fma_f64 v[42:43], v[42:43], s[16:17], v[50:51]
	v_fma_f64 v[40:41], v[38:39], s[0:1], -v[40:41]
	s_mov_b32 s1, 0xbfe77f67
	v_fma_f64 v[38:39], v[38:39], s[0:1], -v[44:45]
	s_mov_b32 s1, 0x3fd5d0dc
	s_mov_b32 s0, 0xb247c609
	v_fma_f64 v[44:45], v[24:25], s[0:1], v[46:47]
	s_mov_b32 s1, 0xbfd5d0dc
	v_fma_f64 v[24:25], v[24:25], s[0:1], -v[48:49]
	v_fma_f64 v[34:35], v[34:35], s[14:15], -v[46:47]
	s_mov_b32 s0, 0x37c3f68c
	s_mov_b32 s1, 0x3fdc38aa
	v_add_f64 v[36:37], v[36:37], v[42:43]
	v_add_f64 v[40:41], v[40:41], v[42:43]
	;; [unrolled: 1-line block ×3, first 2 shown]
	v_fma_f64 v[42:43], v[22:23], s[0:1], v[44:45]
	v_fma_f64 v[24:25], v[22:23], s[0:1], v[24:25]
	;; [unrolled: 1-line block ×3, first 2 shown]
	v_add_f64 v[34:35], v[36:37], -v[42:43]
	v_add_f64 v[44:45], v[38:39], -v[24:25]
	v_add_f64 v[46:47], v[22:23], v[40:41]
	v_add_f64 v[22:23], v[40:41], -v[22:23]
	v_add_f64 v[24:25], v[24:25], v[38:39]
	v_add_f64 v[36:37], v[42:43], v[36:37]
	v_add_u32_e32 v38, 0x2800, v54
	ds_write2_b64 v38, v[50:51], v[34:35] offset0:64 offset1:112
	ds_write2_b64 v38, v[44:45], v[46:47] offset0:160 offset1:208
	v_add_u32_e32 v34, 0x3000, v54
	ds_write2_b64 v34, v[22:23], v[24:25] offset1:48
	ds_write_b64 v54, v[36:37] offset:13056
.LBB0_51:
	s_or_b64 exec, exec, s[4:5]
	s_waitcnt lgkmcnt(0)
	s_barrier
	s_and_saveexec_b64 s[0:1], vcc
	s_cbranch_execz .LBB0_53
; %bb.52:
	v_lshlrev_b32_e32 v62, 2, v105
	v_mov_b32_e32 v63, 0
	v_lshlrev_b64 v[22:23], 4, v[62:63]
	v_mov_b32_e32 v74, s9
	v_add_co_u32_e32 v22, vcc, s8, v22
	v_addc_co_u32_e32 v38, vcc, v74, v23, vcc
	v_add_co_u32_e32 v46, vcc, 0x14e0, v22
	v_addc_co_u32_e32 v47, vcc, 0, v38, vcc
	v_add_co_u32_e32 v48, vcc, 0x1000, v22
	global_load_dwordx4 v[22:25], v[46:47], off offset:32
	global_load_dwordx4 v[34:37], v[46:47], off offset:16
	v_addc_co_u32_e32 v49, vcc, 0, v38, vcc
	global_load_dwordx4 v[38:41], v[48:49], off offset:1248
	global_load_dwordx4 v[42:45], v[46:47], off offset:48
	v_lshlrev_b32_e32 v62, 2, v103
	v_lshlrev_b64 v[64:65], 4, v[62:63]
	v_lshlrev_b32_e32 v62, 2, v102
	v_lshlrev_b64 v[70:71], 4, v[62:63]
	v_add_co_u32_e32 v62, vcc, s8, v64
	s_movk_i32 s9, 0x14e0
	v_addc_co_u32_e32 v63, vcc, v74, v65, vcc
	v_add_co_u32_e32 v84, vcc, s9, v62
	s_movk_i32 s16, 0x1000
	v_addc_co_u32_e32 v85, vcc, 0, v63, vcc
	v_add_co_u32_e32 v72, vcc, s16, v62
	v_add_u32_e32 v50, 0x1800, v106
	v_add_u32_e32 v54, 0x1100, v106
	;; [unrolled: 1-line block ×3, first 2 shown]
	v_addc_co_u32_e32 v73, vcc, 0, v63, vcc
	ds_read_b64 v[78:79], v106 offset:12544
	ds_read2st64_b64 v[46:49], v106 offset1:7
	ds_read_b64 v[94:95], v110
	ds_read_b64 v[82:83], v109
	;; [unrolled: 1-line block ×3, first 2 shown]
	ds_read2_b64 v[50:53], v50 offset0:128 offset1:240
	ds_read2_b64 v[54:57], v54 offset0:16 offset1:240
	;; [unrolled: 1-line block ×3, first 2 shown]
	global_load_dwordx4 v[62:65], v[72:73], off offset:1248
	global_load_dwordx4 v[66:69], v[84:85], off offset:48
	v_add_co_u32_e32 v103, vcc, s8, v70
	v_addc_co_u32_e32 v105, vcc, v74, v71, vcc
	global_load_dwordx4 v[70:73], v[84:85], off offset:32
	global_load_dwordx4 v[74:77], v[84:85], off offset:16
	s_mov_b32 s6, 0x134454ff
	s_mov_b32 s7, 0xbfee6f0e
	;; [unrolled: 1-line block ×10, first 2 shown]
	s_waitcnt vmcnt(7) lgkmcnt(0)
	v_mul_f64 v[86:87], v[22:23], v[60:61]
	s_waitcnt vmcnt(6)
	v_mul_f64 v[84:85], v[34:35], v[50:51]
	v_mul_f64 v[60:61], v[24:25], v[60:61]
	s_waitcnt vmcnt(5)
	v_mul_f64 v[88:89], v[38:39], v[54:55]
	s_waitcnt vmcnt(4)
	v_mul_f64 v[90:91], v[42:43], v[78:79]
	v_mul_f64 v[50:51], v[36:37], v[50:51]
	;; [unrolled: 1-line block ×4, first 2 shown]
	v_fma_f64 v[24:25], v[18:19], v[24:25], v[86:87]
	v_fma_f64 v[84:85], v[8:9], v[36:37], v[84:85]
	v_fma_f64 v[60:61], v[18:19], v[22:23], -v[60:61]
	v_fma_f64 v[18:19], v[12:13], v[40:41], v[88:89]
	v_fma_f64 v[22:23], v[20:21], v[44:45], v[90:91]
	v_fma_f64 v[98:99], v[8:9], v[34:35], -v[50:51]
	v_fma_f64 v[12:13], v[12:13], v[38:39], -v[54:55]
	;; [unrolled: 1-line block ×3, first 2 shown]
	v_add_co_u32_e32 v8, vcc, s16, v103
	v_add_f64 v[20:21], v[84:85], v[24:25]
	v_add_f64 v[42:43], v[84:85], -v[18:19]
	v_add_f64 v[78:79], v[18:19], v[22:23]
	v_add_f64 v[40:41], v[98:99], v[60:61]
	v_add_f64 v[86:87], v[18:19], -v[84:85]
	v_add_f64 v[50:51], v[12:13], -v[54:55]
	v_add_f64 v[90:91], v[18:19], v[82:83]
	v_add_f64 v[108:109], v[12:13], v[54:55]
	v_add_f64 v[110:111], v[18:19], -v[22:23]
	v_fma_f64 v[18:19], v[20:21], -0.5, v[82:83]
	v_addc_co_u32_e32 v9, vcc, 0, v105, vcc
	global_load_dwordx4 v[34:37], v[8:9], off offset:1248
	v_add_f64 v[8:9], v[98:99], -v[60:61]
	v_add_f64 v[44:45], v[24:25], -v[22:23]
	;; [unrolled: 1-line block ×3, first 2 shown]
	v_fma_f64 v[20:21], v[78:79], -0.5, v[82:83]
	v_add_f64 v[38:39], v[84:85], -v[24:25]
	v_fma_f64 v[114:115], v[40:41], -0.5, v[32:33]
	v_fma_f64 v[40:41], v[108:109], -0.5, v[32:33]
	v_fma_f64 v[82:83], v[50:51], s[14:15], v[18:19]
	v_fma_f64 v[18:19], v[50:51], s[6:7], v[18:19]
	v_add_f64 v[42:43], v[42:43], v[44:45]
	v_add_f64 v[44:45], v[86:87], v[88:89]
	v_fma_f64 v[86:87], v[8:9], s[6:7], v[20:21]
	v_fma_f64 v[20:21], v[8:9], s[14:15], v[20:21]
	v_add_f64 v[84:85], v[84:85], v[90:91]
	v_fma_f64 v[88:89], v[38:39], s[14:15], v[40:41]
	v_fma_f64 v[40:41], v[38:39], s[6:7], v[40:41]
	;; [unrolled: 1-line block ×4, first 2 shown]
	v_add_f64 v[92:93], v[98:99], -v[12:13]
	v_fma_f64 v[86:87], v[50:51], s[4:5], v[86:87]
	v_fma_f64 v[50:51], v[50:51], s[10:11], v[20:21]
	v_add_f64 v[100:101], v[60:61], -v[54:55]
	v_add_f64 v[116:117], v[24:25], v[84:85]
	v_fma_f64 v[120:121], v[110:111], s[4:5], v[40:41]
	v_fma_f64 v[40:41], v[44:45], s[0:1], v[18:19]
	v_add_co_u32_e32 v18, vcc, s9, v103
	v_addc_co_u32_e32 v19, vcc, 0, v105, vcc
	v_fma_f64 v[8:9], v[44:45], s[0:1], v[82:83]
	v_fma_f64 v[20:21], v[42:43], s[0:1], v[86:87]
	;; [unrolled: 1-line block ×3, first 2 shown]
	global_load_dwordx4 v[42:45], v[18:19], off offset:48
	v_add_u32_e32 v50, 0x2800, v106
	v_add_f64 v[100:101], v[92:93], v[100:101]
	v_fma_f64 v[118:119], v[110:111], s[10:11], v[88:89]
	ds_read2_b64 v[82:85], v50 offset0:64 offset1:176
	global_load_dwordx4 v[86:89], v[18:19], off offset:32
	global_load_dwordx4 v[90:93], v[18:19], off offset:16
	v_add_f64 v[112:113], v[12:13], -v[98:99]
	v_add_f64 v[78:79], v[54:55], -v[60:61]
	v_fma_f64 v[108:109], v[110:111], s[6:7], v[114:115]
	v_add_f64 v[50:51], v[22:23], v[116:117]
	s_waitcnt vmcnt(7)
	v_mul_f64 v[105:106], v[62:63], v[48:49]
	s_waitcnt vmcnt(6) lgkmcnt(0)
	v_mul_f64 v[116:117], v[66:67], v[84:85]
	v_add_f64 v[12:13], v[32:33], v[12:13]
	v_fma_f64 v[18:19], v[100:101], s[0:1], v[118:119]
	v_fma_f64 v[22:23], v[100:101], s[0:1], v[120:121]
	v_add_f64 v[32:33], v[112:113], v[78:79]
	v_fma_f64 v[78:79], v[38:39], s[10:11], v[108:109]
	v_fma_f64 v[100:101], v[110:111], s[14:15], v[114:115]
	;; [unrolled: 1-line block ×4, first 2 shown]
	s_waitcnt vmcnt(4)
	v_mul_f64 v[110:111], v[76:77], v[56:57]
	v_mul_f64 v[112:113], v[72:73], v[58:59]
	v_add_f64 v[12:13], v[98:99], v[12:13]
	v_mul_f64 v[56:57], v[74:75], v[56:57]
	v_mul_f64 v[58:59], v[70:71], v[58:59]
	;; [unrolled: 1-line block ×4, first 2 shown]
	v_add_f64 v[68:69], v[105:106], v[108:109]
	v_fma_f64 v[74:75], v[14:15], v[74:75], -v[110:111]
	v_fma_f64 v[70:71], v[16:17], v[70:71], -v[112:113]
	v_fma_f64 v[38:39], v[38:39], s[4:5], v[100:101]
	v_add_f64 v[12:13], v[12:13], v[60:61]
	v_fma_f64 v[14:15], v[14:15], v[76:77], v[56:57]
	v_fma_f64 v[16:17], v[16:17], v[72:73], v[58:59]
	v_fma_f64 v[2:3], v[2:3], v[62:63], -v[48:49]
	v_fma_f64 v[60:61], v[6:7], v[66:67], -v[64:65]
	v_fma_f64 v[56:57], v[68:69], -0.5, v[96:97]
	v_add_f64 v[58:59], v[74:75], -v[70:71]
	v_fma_f64 v[6:7], v[32:33], s[0:1], v[78:79]
	v_fma_f64 v[38:39], v[32:33], s[0:1], v[38:39]
	v_add_f64 v[48:49], v[12:13], v[54:55]
	v_add_f64 v[12:13], v[14:15], -v[105:106]
	v_add_f64 v[32:33], v[14:15], v[16:17]
	v_add_f64 v[54:55], v[16:17], -v[108:109]
	;; [unrolled: 2-line block ×3, first 2 shown]
	v_fma_f64 v[64:65], v[58:59], s[6:7], v[56:57]
	v_fma_f64 v[56:57], v[58:59], s[14:15], v[56:57]
	v_add_f64 v[68:69], v[105:106], -v[14:15]
	v_add_f64 v[72:73], v[108:109], -v[16:17]
	v_fma_f64 v[32:33], v[32:33], -0.5, v[96:97]
	v_add_f64 v[12:13], v[12:13], v[54:55]
	v_add_f64 v[54:55], v[105:106], v[96:97]
	v_fma_f64 v[66:67], v[66:67], -0.5, v[30:31]
	v_add_f64 v[76:77], v[14:15], -v[16:17]
	v_fma_f64 v[64:65], v[62:63], s[4:5], v[64:65]
	v_fma_f64 v[56:57], v[62:63], s[10:11], v[56:57]
	v_add_f64 v[68:69], v[68:69], v[72:73]
	v_fma_f64 v[72:73], v[62:63], s[14:15], v[32:33]
	v_fma_f64 v[32:33], v[62:63], s[6:7], v[32:33]
	v_add_f64 v[54:55], v[14:15], v[54:55]
	v_add_f64 v[62:63], v[74:75], -v[2:3]
	v_add_f64 v[78:79], v[70:71], -v[60:61]
	v_add_f64 v[84:85], v[74:75], v[70:71]
	v_fma_f64 v[96:97], v[76:77], s[14:15], v[66:67]
	v_add_f64 v[98:99], v[105:106], -v[108:109]
	v_fma_f64 v[72:73], v[58:59], s[4:5], v[72:73]
	v_fma_f64 v[58:59], v[58:59], s[10:11], v[32:33]
	;; [unrolled: 1-line block ×4, first 2 shown]
	v_add_f64 v[12:13], v[16:17], v[54:55]
	v_fma_f64 v[16:17], v[84:85], -0.5, v[30:31]
	v_add_f64 v[56:57], v[62:63], v[78:79]
	v_fma_f64 v[64:65], v[98:99], s[10:11], v[96:97]
	v_fma_f64 v[54:55], v[68:69], s[0:1], v[72:73]
	;; [unrolled: 1-line block ×4, first 2 shown]
	v_add_f64 v[68:69], v[2:3], -v[74:75]
	v_add_f64 v[72:73], v[60:61], -v[70:71]
	v_fma_f64 v[78:79], v[98:99], s[6:7], v[16:17]
	v_add_f64 v[62:63], v[108:109], v[12:13]
	v_fma_f64 v[12:13], v[56:57], s[0:1], v[64:65]
	s_waitcnt vmcnt(3)
	v_mul_f64 v[64:65], v[34:35], v[94:95]
	s_waitcnt vmcnt(2)
	v_mul_f64 v[96:97], v[42:43], v[82:83]
	ds_read_b64 v[84:85], v107
	v_fma_f64 v[66:67], v[98:99], s[4:5], v[66:67]
	v_add_f64 v[68:69], v[68:69], v[72:73]
	v_fma_f64 v[72:73], v[76:77], s[10:11], v[78:79]
	v_fma_f64 v[16:17], v[98:99], s[14:15], v[16:17]
	s_waitcnt vmcnt(0) lgkmcnt(0)
	v_mul_f64 v[78:79], v[90:91], v[84:85]
	v_fma_f64 v[64:65], v[28:29], v[36:37], v[64:65]
	v_mul_f64 v[98:99], v[86:87], v[52:53]
	v_fma_f64 v[96:97], v[4:5], v[44:45], v[96:97]
	v_mul_f64 v[84:85], v[92:93], v[84:85]
	v_mul_f64 v[52:53], v[88:89], v[52:53]
	v_add_f64 v[2:3], v[30:31], v[2:3]
	v_mul_f64 v[30:31], v[36:37], v[94:95]
	v_fma_f64 v[78:79], v[26:27], v[92:93], v[78:79]
	v_mul_f64 v[36:37], v[44:45], v[82:83]
	v_fma_f64 v[82:83], v[10:11], v[88:89], v[98:99]
	v_add_f64 v[44:45], v[64:65], v[96:97]
	v_fma_f64 v[26:27], v[26:27], v[90:91], -v[84:85]
	v_fma_f64 v[10:11], v[10:11], v[86:87], -v[52:53]
	v_fma_f64 v[16:17], v[76:77], s[4:5], v[16:17]
	v_fma_f64 v[34:35], v[28:29], v[34:35], -v[30:31]
	v_add_f64 v[2:3], v[74:75], v[2:3]
	v_fma_f64 v[4:5], v[4:5], v[42:43], -v[36:37]
	v_add_f64 v[28:29], v[78:79], v[82:83]
	v_fma_f64 v[42:43], v[44:45], -0.5, v[46:47]
	v_add_f64 v[36:37], v[78:79], -v[64:65]
	v_add_f64 v[44:45], v[26:27], -v[10:11]
	;; [unrolled: 1-line block ×3, first 2 shown]
	v_fma_f64 v[30:31], v[56:57], s[0:1], v[66:67]
	v_fma_f64 v[56:57], v[68:69], s[0:1], v[16:17]
	v_add_f64 v[66:67], v[34:35], -v[4:5]
	v_fma_f64 v[28:29], v[28:29], -0.5, v[46:47]
	v_add_f64 v[2:3], v[2:3], v[70:71]
	v_fma_f64 v[52:53], v[68:69], s[0:1], v[72:73]
	v_fma_f64 v[16:17], v[44:45], s[6:7], v[42:43]
	;; [unrolled: 1-line block ×3, first 2 shown]
	v_add_f64 v[36:37], v[36:37], v[74:75]
	v_add_f64 v[68:69], v[64:65], -v[78:79]
	v_add_f64 v[70:71], v[96:97], -v[82:83]
	v_fma_f64 v[72:73], v[66:67], s[14:15], v[28:29]
	v_fma_f64 v[28:29], v[66:67], s[6:7], v[28:29]
	v_add_f64 v[46:47], v[64:65], v[46:47]
	v_fma_f64 v[16:17], v[66:67], s[4:5], v[16:17]
	v_fma_f64 v[42:43], v[66:67], s[10:11], v[42:43]
	v_add_f64 v[66:67], v[34:35], v[4:5]
	v_add_f64 v[60:61], v[2:3], v[60:61]
	;; [unrolled: 1-line block ×3, first 2 shown]
	v_fma_f64 v[70:71], v[44:45], s[4:5], v[72:73]
	v_fma_f64 v[44:45], v[44:45], s[10:11], v[28:29]
	v_add_f64 v[46:47], v[78:79], v[46:47]
	v_fma_f64 v[2:3], v[36:37], s[0:1], v[16:17]
	v_add_f64 v[16:17], v[26:27], v[10:11]
	v_fma_f64 v[28:29], v[36:37], s[0:1], v[42:43]
	v_fma_f64 v[42:43], v[66:67], -0.5, v[0:1]
	v_add_f64 v[72:73], v[78:79], -v[82:83]
	v_add_f64 v[64:65], v[64:65], -v[96:97]
	v_fma_f64 v[36:37], v[68:69], s[0:1], v[70:71]
	v_fma_f64 v[44:45], v[68:69], s[0:1], v[44:45]
	v_add_f64 v[46:47], v[82:83], v[46:47]
	v_fma_f64 v[16:17], v[16:17], -0.5, v[0:1]
	v_add_f64 v[0:1], v[0:1], v[34:35]
	v_add_f64 v[68:69], v[26:27], -v[34:35]
	v_add_f64 v[70:71], v[10:11], -v[4:5]
	v_fma_f64 v[74:75], v[72:73], s[14:15], v[42:43]
	v_fma_f64 v[42:43], v[72:73], s[6:7], v[42:43]
	v_add_f64 v[34:35], v[34:35], -v[26:27]
	v_add_f64 v[76:77], v[4:5], -v[10:11]
	v_fma_f64 v[78:79], v[64:65], s[6:7], v[16:17]
	v_fma_f64 v[16:17], v[64:65], s[14:15], v[16:17]
	v_add_f64 v[0:1], v[26:27], v[0:1]
	v_add_f64 v[66:67], v[96:97], v[46:47]
	;; [unrolled: 1-line block ×3, first 2 shown]
	v_fma_f64 v[26:27], v[64:65], s[10:11], v[74:75]
	v_fma_f64 v[42:43], v[64:65], s[4:5], v[42:43]
	v_add_f64 v[64:65], v[34:35], v[76:77]
	v_fma_f64 v[34:35], v[72:73], s[10:11], v[78:79]
	v_fma_f64 v[16:17], v[72:73], s[4:5], v[16:17]
	v_add_f64 v[10:11], v[0:1], v[10:11]
	v_mad_u64_u32 v[68:69], s[4:5], s2, v102, 0
	v_fma_f64 v[0:1], v[46:47], s[0:1], v[26:27]
	v_fma_f64 v[26:27], v[46:47], s[0:1], v[42:43]
	v_mov_b32_e32 v42, v69
	v_mad_u64_u32 v[46:47], s[4:5], s3, v102, v[42:43]
	v_fma_f64 v[42:43], v[64:65], s[0:1], v[16:17]
	v_add_u32_e32 v16, 0x150, v102
	v_fma_f64 v[34:35], v[64:65], s[0:1], v[34:35]
	v_add_f64 v[64:65], v[10:11], v[4:5]
	v_mad_u64_u32 v[10:11], s[0:1], s2, v16, 0
	v_mov_b32_e32 v69, v46
	v_mov_b32_e32 v4, s13
	v_mad_u64_u32 v[16:17], s[0:1], s3, v16, v[11:12]
	v_add_co_u32_e32 v70, vcc, s12, v80
	v_add_u32_e32 v17, 0x2a0, v102
	v_addc_co_u32_e32 v71, vcc, v4, v81, vcc
	v_lshlrev_b64 v[4:5], 4, v[68:69]
	v_mad_u64_u32 v[46:47], s[0:1], s2, v17, 0
	v_add_co_u32_e32 v4, vcc, v70, v4
	v_addc_co_u32_e32 v5, vcc, v71, v5, vcc
	v_mov_b32_e32 v11, v16
	global_store_dwordx4 v[4:5], v[64:67], off
	v_lshlrev_b64 v[4:5], 4, v[10:11]
	v_mov_b32_e32 v10, v47
	v_mad_u64_u32 v[10:11], s[0:1], s3, v17, v[10:11]
	v_add_u32_e32 v16, 0x3f0, v102
	v_add_co_u32_e32 v4, vcc, v70, v4
	v_mov_b32_e32 v47, v10
	v_mad_u64_u32 v[10:11], s[0:1], s2, v16, 0
	v_addc_co_u32_e32 v5, vcc, v71, v5, vcc
	v_mad_u64_u32 v[16:17], s[0:1], s3, v16, v[11:12]
	global_store_dwordx4 v[4:5], v[42:45], off
	v_lshlrev_b64 v[4:5], 4, v[46:47]
	v_add_u32_e32 v17, 0x540, v102
	v_add_co_u32_e32 v4, vcc, v70, v4
	v_addc_co_u32_e32 v5, vcc, v71, v5, vcc
	v_mov_b32_e32 v11, v16
	v_mad_u64_u32 v[42:43], s[0:1], s2, v17, 0
	global_store_dwordx4 v[4:5], v[26:29], off
	v_lshlrev_b64 v[4:5], 4, v[10:11]
	v_mov_b32_e32 v10, v43
	v_add_co_u32_e32 v4, vcc, v70, v4
	v_addc_co_u32_e32 v5, vcc, v71, v5, vcc
	global_store_dwordx4 v[4:5], v[0:3], off
	v_add_u32_e32 v4, 0x70, v102
	v_mad_u64_u32 v[10:11], s[0:1], s3, v17, v[10:11]
	v_mad_u64_u32 v[2:3], s[0:1], s2, v4, 0
	v_mov_b32_e32 v43, v10
	v_add_u32_e32 v10, 0x1c0, v102
	v_mad_u64_u32 v[3:4], s[0:1], s3, v4, v[3:4]
	v_lshlrev_b64 v[0:1], 4, v[42:43]
	v_mad_u64_u32 v[4:5], s[0:1], s2, v10, 0
	v_add_co_u32_e32 v0, vcc, v70, v0
	v_addc_co_u32_e32 v1, vcc, v71, v1, vcc
	global_store_dwordx4 v[0:1], v[34:37], off
	v_lshlrev_b64 v[0:1], 4, v[2:3]
	v_mov_b32_e32 v2, v5
	v_mad_u64_u32 v[2:3], s[0:1], s3, v10, v[2:3]
	v_add_co_u32_e32 v0, vcc, v70, v0
	v_mov_b32_e32 v5, v2
	v_mad_u64_u32 v[2:3], s[0:1], s2, v104, 0
	v_addc_co_u32_e32 v1, vcc, v71, v1, vcc
	global_store_dwordx4 v[0:1], v[60:63], off
	v_lshlrev_b64 v[0:1], 4, v[4:5]
	v_mad_u64_u32 v[3:4], s[0:1], s3, v104, v[3:4]
	v_add_u32_e32 v10, 0x460, v102
	v_mad_u64_u32 v[4:5], s[0:1], s2, v10, 0
	v_add_co_u32_e32 v0, vcc, v70, v0
	v_addc_co_u32_e32 v1, vcc, v71, v1, vcc
	global_store_dwordx4 v[0:1], v[56:59], off
	v_lshlrev_b64 v[0:1], 4, v[2:3]
	v_mov_b32_e32 v2, v5
	v_mad_u64_u32 v[2:3], s[0:1], s3, v10, v[2:3]
	v_add_co_u32_e32 v0, vcc, v70, v0
	v_addc_co_u32_e32 v1, vcc, v71, v1, vcc
	v_mov_b32_e32 v5, v2
	global_store_dwordx4 v[0:1], v[30:33], off
	v_lshlrev_b64 v[0:1], 4, v[4:5]
	v_add_u32_e32 v4, 0x5b0, v102
	v_mad_u64_u32 v[2:3], s[0:1], s2, v4, 0
	v_add_u32_e32 v5, 0xe0, v102
	v_lshrrev_b32_e32 v10, 4, v5
	s_mov_b32 s0, 0x18618619
	v_mul_hi_u32 v10, v10, s0
	v_mad_u64_u32 v[3:4], s[0:1], s3, v4, v[3:4]
	s_movk_i32 s4, 0x540
	v_lshrrev_b32_e32 v4, 1, v10
	v_mad_u32_u24 v10, v4, s4, v5
	v_mad_u64_u32 v[4:5], s[0:1], s2, v10, 0
	v_add_co_u32_e32 v0, vcc, v70, v0
	v_addc_co_u32_e32 v1, vcc, v71, v1, vcc
	global_store_dwordx4 v[0:1], v[12:15], off
	v_lshlrev_b64 v[0:1], 4, v[2:3]
	v_mov_b32_e32 v2, v5
	v_mad_u64_u32 v[2:3], s[0:1], s3, v10, v[2:3]
	v_add_co_u32_e32 v0, vcc, v70, v0
	v_addc_co_u32_e32 v1, vcc, v71, v1, vcc
	v_mov_b32_e32 v5, v2
	global_store_dwordx4 v[0:1], v[52:55], off
	v_lshlrev_b64 v[0:1], 4, v[4:5]
	v_add_u32_e32 v4, 0x150, v10
	v_mad_u64_u32 v[2:3], s[0:1], s2, v4, 0
	v_add_u32_e32 v11, 0x2a0, v10
	v_add_co_u32_e32 v0, vcc, v70, v0
	v_mad_u64_u32 v[3:4], s[0:1], s3, v4, v[3:4]
	v_mad_u64_u32 v[4:5], s[0:1], s2, v11, 0
	v_addc_co_u32_e32 v1, vcc, v71, v1, vcc
	global_store_dwordx4 v[0:1], v[48:51], off
	v_lshlrev_b64 v[0:1], 4, v[2:3]
	v_mov_b32_e32 v2, v5
	v_mad_u64_u32 v[2:3], s[0:1], s3, v11, v[2:3]
	v_add_co_u32_e32 v0, vcc, v70, v0
	v_addc_co_u32_e32 v1, vcc, v71, v1, vcc
	v_mov_b32_e32 v5, v2
	global_store_dwordx4 v[0:1], v[38:41], off
	v_lshlrev_b64 v[0:1], 4, v[4:5]
	v_add_u32_e32 v4, 0x3f0, v10
	v_mad_u64_u32 v[2:3], s[0:1], s2, v4, 0
	v_add_u32_e32 v10, 0x540, v10
	v_add_co_u32_e32 v0, vcc, v70, v0
	v_mad_u64_u32 v[3:4], s[0:1], s3, v4, v[3:4]
	v_mad_u64_u32 v[4:5], s[0:1], s2, v10, 0
	v_addc_co_u32_e32 v1, vcc, v71, v1, vcc
	global_store_dwordx4 v[0:1], v[22:25], off
	v_lshlrev_b64 v[0:1], 4, v[2:3]
	v_mov_b32_e32 v2, v5
	v_mad_u64_u32 v[2:3], s[0:1], s3, v10, v[2:3]
	v_add_co_u32_e32 v0, vcc, v70, v0
	v_addc_co_u32_e32 v1, vcc, v71, v1, vcc
	v_mov_b32_e32 v5, v2
	global_store_dwordx4 v[0:1], v[18:21], off
	v_lshlrev_b64 v[0:1], 4, v[4:5]
	v_add_co_u32_e32 v0, vcc, v70, v0
	v_addc_co_u32_e32 v1, vcc, v71, v1, vcc
	global_store_dwordx4 v[0:1], v[6:9], off
.LBB0_53:
	s_endpgm
	.section	.rodata,"a",@progbits
	.p2align	6, 0x0
	.amdhsa_kernel fft_rtc_fwd_len1680_factors_2_2_2_2_3_7_5_wgs_112_tpt_112_halfLds_dp_ip_CI_sbrr_dirReg
		.amdhsa_group_segment_fixed_size 0
		.amdhsa_private_segment_fixed_size 0
		.amdhsa_kernarg_size 88
		.amdhsa_user_sgpr_count 6
		.amdhsa_user_sgpr_private_segment_buffer 1
		.amdhsa_user_sgpr_dispatch_ptr 0
		.amdhsa_user_sgpr_queue_ptr 0
		.amdhsa_user_sgpr_kernarg_segment_ptr 1
		.amdhsa_user_sgpr_dispatch_id 0
		.amdhsa_user_sgpr_flat_scratch_init 0
		.amdhsa_user_sgpr_private_segment_size 0
		.amdhsa_uses_dynamic_stack 0
		.amdhsa_system_sgpr_private_segment_wavefront_offset 0
		.amdhsa_system_sgpr_workgroup_id_x 1
		.amdhsa_system_sgpr_workgroup_id_y 0
		.amdhsa_system_sgpr_workgroup_id_z 0
		.amdhsa_system_sgpr_workgroup_info 0
		.amdhsa_system_vgpr_workitem_id 0
		.amdhsa_next_free_vgpr 208
		.amdhsa_next_free_sgpr 30
		.amdhsa_reserve_vcc 1
		.amdhsa_reserve_flat_scratch 0
		.amdhsa_float_round_mode_32 0
		.amdhsa_float_round_mode_16_64 0
		.amdhsa_float_denorm_mode_32 3
		.amdhsa_float_denorm_mode_16_64 3
		.amdhsa_dx10_clamp 1
		.amdhsa_ieee_mode 1
		.amdhsa_fp16_overflow 0
		.amdhsa_exception_fp_ieee_invalid_op 0
		.amdhsa_exception_fp_denorm_src 0
		.amdhsa_exception_fp_ieee_div_zero 0
		.amdhsa_exception_fp_ieee_overflow 0
		.amdhsa_exception_fp_ieee_underflow 0
		.amdhsa_exception_fp_ieee_inexact 0
		.amdhsa_exception_int_div_zero 0
	.end_amdhsa_kernel
	.text
.Lfunc_end0:
	.size	fft_rtc_fwd_len1680_factors_2_2_2_2_3_7_5_wgs_112_tpt_112_halfLds_dp_ip_CI_sbrr_dirReg, .Lfunc_end0-fft_rtc_fwd_len1680_factors_2_2_2_2_3_7_5_wgs_112_tpt_112_halfLds_dp_ip_CI_sbrr_dirReg
                                        ; -- End function
	.section	.AMDGPU.csdata,"",@progbits
; Kernel info:
; codeLenInByte = 14628
; NumSgprs: 34
; NumVgprs: 208
; ScratchSize: 0
; MemoryBound: 1
; FloatMode: 240
; IeeeMode: 1
; LDSByteSize: 0 bytes/workgroup (compile time only)
; SGPRBlocks: 4
; VGPRBlocks: 51
; NumSGPRsForWavesPerEU: 34
; NumVGPRsForWavesPerEU: 208
; Occupancy: 1
; WaveLimiterHint : 1
; COMPUTE_PGM_RSRC2:SCRATCH_EN: 0
; COMPUTE_PGM_RSRC2:USER_SGPR: 6
; COMPUTE_PGM_RSRC2:TRAP_HANDLER: 0
; COMPUTE_PGM_RSRC2:TGID_X_EN: 1
; COMPUTE_PGM_RSRC2:TGID_Y_EN: 0
; COMPUTE_PGM_RSRC2:TGID_Z_EN: 0
; COMPUTE_PGM_RSRC2:TIDIG_COMP_CNT: 0
	.type	__hip_cuid_4db74af283519c86,@object ; @__hip_cuid_4db74af283519c86
	.section	.bss,"aw",@nobits
	.globl	__hip_cuid_4db74af283519c86
__hip_cuid_4db74af283519c86:
	.byte	0                               ; 0x0
	.size	__hip_cuid_4db74af283519c86, 1

	.ident	"AMD clang version 19.0.0git (https://github.com/RadeonOpenCompute/llvm-project roc-6.4.0 25133 c7fe45cf4b819c5991fe208aaa96edf142730f1d)"
	.section	".note.GNU-stack","",@progbits
	.addrsig
	.addrsig_sym __hip_cuid_4db74af283519c86
	.amdgpu_metadata
---
amdhsa.kernels:
  - .args:
      - .actual_access:  read_only
        .address_space:  global
        .offset:         0
        .size:           8
        .value_kind:     global_buffer
      - .offset:         8
        .size:           8
        .value_kind:     by_value
      - .actual_access:  read_only
        .address_space:  global
        .offset:         16
        .size:           8
        .value_kind:     global_buffer
      - .actual_access:  read_only
        .address_space:  global
        .offset:         24
        .size:           8
        .value_kind:     global_buffer
      - .offset:         32
        .size:           8
        .value_kind:     by_value
      - .actual_access:  read_only
        .address_space:  global
        .offset:         40
        .size:           8
        .value_kind:     global_buffer
      - .actual_access:  read_only
        .address_space:  global
        .offset:         48
        .size:           8
        .value_kind:     global_buffer
      - .offset:         56
        .size:           4
        .value_kind:     by_value
      - .actual_access:  read_only
        .address_space:  global
        .offset:         64
        .size:           8
        .value_kind:     global_buffer
      - .actual_access:  read_only
        .address_space:  global
        .offset:         72
        .size:           8
        .value_kind:     global_buffer
      - .address_space:  global
        .offset:         80
        .size:           8
        .value_kind:     global_buffer
    .group_segment_fixed_size: 0
    .kernarg_segment_align: 8
    .kernarg_segment_size: 88
    .language:       OpenCL C
    .language_version:
      - 2
      - 0
    .max_flat_workgroup_size: 112
    .name:           fft_rtc_fwd_len1680_factors_2_2_2_2_3_7_5_wgs_112_tpt_112_halfLds_dp_ip_CI_sbrr_dirReg
    .private_segment_fixed_size: 0
    .sgpr_count:     34
    .sgpr_spill_count: 0
    .symbol:         fft_rtc_fwd_len1680_factors_2_2_2_2_3_7_5_wgs_112_tpt_112_halfLds_dp_ip_CI_sbrr_dirReg.kd
    .uniform_work_group_size: 1
    .uses_dynamic_stack: false
    .vgpr_count:     208
    .vgpr_spill_count: 0
    .wavefront_size: 64
amdhsa.target:   amdgcn-amd-amdhsa--gfx906
amdhsa.version:
  - 1
  - 2
...

	.end_amdgpu_metadata
